;; amdgpu-corpus repo=ROCm/rocFFT kind=compiled arch=gfx906 opt=O3
	.text
	.amdgcn_target "amdgcn-amd-amdhsa--gfx906"
	.amdhsa_code_object_version 6
	.protected	bluestein_single_back_len1683_dim1_half_op_CI_CI ; -- Begin function bluestein_single_back_len1683_dim1_half_op_CI_CI
	.globl	bluestein_single_back_len1683_dim1_half_op_CI_CI
	.p2align	8
	.type	bluestein_single_back_len1683_dim1_half_op_CI_CI,@function
bluestein_single_back_len1683_dim1_half_op_CI_CI: ; @bluestein_single_back_len1683_dim1_half_op_CI_CI
; %bb.0:
	s_load_dwordx4 s[8:11], s[4:5], 0x28
	s_mov_b64 s[46:47], s[2:3]
	v_mul_u32_u24_e32 v1, 0x506, v0
	s_mov_b64 s[44:45], s[0:1]
	v_add_u32_sdwa v209, s6, v1 dst_sel:DWORD dst_unused:UNUSED_PAD src0_sel:DWORD src1_sel:WORD_1
	v_mov_b32_e32 v210, 0
	s_add_u32 s44, s44, s7
	s_waitcnt lgkmcnt(0)
	v_cmp_gt_u64_e32 vcc, s[8:9], v[209:210]
	s_addc_u32 s45, s45, 0
	s_and_saveexec_b64 s[0:1], vcc
	s_cbranch_execz .LBB0_15
; %bb.1:
	s_load_dwordx4 s[0:3], s[4:5], 0x18
	s_load_dwordx2 s[6:7], s[4:5], 0x0
	v_mov_b32_e32 v2, 51
	v_mul_lo_u16_sdwa v1, v1, v2 dst_sel:DWORD dst_unused:UNUSED_PAD src0_sel:WORD_1 src1_sel:DWORD
	v_sub_u16_e32 v100, v0, v1
	s_waitcnt lgkmcnt(0)
	s_load_dwordx4 s[12:15], s[0:1], 0x0
	v_lshlrev_b32_e32 v99, 2, v100
	global_load_dword v117, v99, s[6:7]
	v_mov_b32_e32 v11, s7
	s_waitcnt lgkmcnt(0)
	v_mad_u64_u32 v[0:1], s[0:1], s14, v209, 0
	v_mad_u64_u32 v[2:3], s[0:1], s12, v100, 0
	;; [unrolled: 1-line block ×3, first 2 shown]
	s_load_dwordx2 s[14:15], s[4:5], 0x38
	v_mad_u64_u32 v[5:6], s[0:1], s13, v100, v[3:4]
	v_mov_b32_e32 v1, v4
	v_lshlrev_b64 v[0:1], 2, v[0:1]
	v_mov_b32_e32 v6, s11
	v_mov_b32_e32 v3, v5
	v_add_co_u32_e32 v5, vcc, s10, v0
	v_addc_co_u32_e32 v6, vcc, v6, v1, vcc
	v_lshlrev_b64 v[0:1], 2, v[2:3]
	s_mul_i32 s0, s13, 0x63
	s_mul_hi_u32 s1, s12, 0x63
	v_add_co_u32_e32 v0, vcc, v5, v0
	s_add_i32 s1, s1, s0
	s_mul_i32 s0, s12, 0x63
	v_addc_co_u32_e32 v1, vcc, v6, v1, vcc
	s_lshl_b64 s[16:17], s[0:1], 2
	global_load_dword v2, v[0:1], off
	v_mov_b32_e32 v7, s17
	v_add_co_u32_e32 v0, vcc, s16, v0
	v_addc_co_u32_e32 v1, vcc, v1, v7, vcc
	global_load_dword v3, v[0:1], off
	global_load_dword v116, v99, s[6:7] offset:396
	v_add_co_u32_e32 v0, vcc, s16, v0
	v_addc_co_u32_e32 v1, vcc, v1, v7, vcc
	global_load_dword v8, v[0:1], off
	global_load_dword v115, v99, s[6:7] offset:792
	v_add_co_u32_e32 v0, vcc, s16, v0
	v_addc_co_u32_e32 v1, vcc, v1, v7, vcc
	global_load_dword v9, v[0:1], off
	global_load_dword v114, v99, s[6:7] offset:1188
	v_add_co_u32_e32 v0, vcc, s16, v0
	v_addc_co_u32_e32 v1, vcc, v1, v7, vcc
	s_load_dwordx4 s[8:11], s[2:3], 0x0
	global_load_dword v10, v[0:1], off
	global_load_dword v113, v99, s[6:7] offset:1584
	v_add_co_u32_e32 v16, vcc, s6, v99
	v_addc_co_u32_e32 v17, vcc, 0, v11, vcc
	v_add_co_u32_e32 v0, vcc, s16, v0
	v_addc_co_u32_e32 v1, vcc, v1, v7, vcc
	global_load_dword v112, v99, s[6:7] offset:1980
	global_load_dword v111, v99, s[6:7] offset:2376
	;; [unrolled: 1-line block ×3, first 2 shown]
	global_load_dword v11, v[0:1], off
	v_add_co_u32_e32 v0, vcc, s16, v0
	v_addc_co_u32_e32 v1, vcc, v1, v7, vcc
	global_load_dword v12, v[0:1], off
	v_add_co_u32_e32 v0, vcc, s16, v0
	v_addc_co_u32_e32 v1, vcc, v1, v7, vcc
	v_add_u32_e32 v4, 0x200, v99
	s_movk_i32 s0, 0x1000
	s_waitcnt vmcnt(13)
	v_lshrrev_b32_e32 v13, 16, v2
	v_mul_f16_sdwa v14, v117, v2 dst_sel:DWORD dst_unused:UNUSED_PAD src0_sel:WORD_1 src1_sel:DWORD
	v_mul_f16_sdwa v15, v117, v13 dst_sel:DWORD dst_unused:UNUSED_PAD src0_sel:WORD_1 src1_sel:DWORD
	v_fma_f16 v13, v117, v13, -v14
	v_fma_f16 v2, v117, v2, v15
	s_waitcnt vmcnt(12)
	v_lshrrev_b32_e32 v14, 16, v3
	s_waitcnt vmcnt(11)
	v_mul_f16_sdwa v19, v116, v3 dst_sel:DWORD dst_unused:UNUSED_PAD src0_sel:WORD_1 src1_sel:DWORD
	v_mul_f16_sdwa v15, v116, v14 dst_sel:DWORD dst_unused:UNUSED_PAD src0_sel:WORD_1 src1_sel:DWORD
	v_fma_f16 v14, v116, v14, -v19
	v_pack_b32_f16 v2, v2, v13
	s_waitcnt vmcnt(10)
	v_lshrrev_b32_e32 v19, 16, v8
	s_waitcnt vmcnt(9)
	v_mul_f16_sdwa v20, v115, v8 dst_sel:DWORD dst_unused:UNUSED_PAD src0_sel:WORD_1 src1_sel:DWORD
	v_fma_f16 v3, v116, v3, v15
	v_mul_f16_sdwa v13, v115, v19 dst_sel:DWORD dst_unused:UNUSED_PAD src0_sel:WORD_1 src1_sel:DWORD
	v_fma_f16 v15, v115, v19, -v20
	v_pack_b32_f16 v3, v3, v14
	v_fma_f16 v8, v115, v8, v13
	ds_write2_b32 v99, v2, v3 offset1:99
	v_pack_b32_f16 v2, v8, v15
	global_load_dword v8, v[0:1], off
	s_waitcnt vmcnt(9)
	v_lshrrev_b32_e32 v19, 16, v9
	s_waitcnt vmcnt(8)
	v_mul_f16_sdwa v20, v114, v9 dst_sel:DWORD dst_unused:UNUSED_PAD src0_sel:WORD_1 src1_sel:DWORD
	v_mul_f16_sdwa v13, v114, v19 dst_sel:DWORD dst_unused:UNUSED_PAD src0_sel:WORD_1 src1_sel:DWORD
	v_fma_f16 v14, v114, v19, -v20
	v_fma_f16 v3, v114, v9, v13
	v_pack_b32_f16 v3, v3, v14
	v_add_co_u32_e32 v0, vcc, s16, v0
	ds_write2_b32 v4, v2, v3 offset0:70 offset1:169
	v_addc_co_u32_e32 v1, vcc, v1, v7, vcc
	global_load_dword v9, v[0:1], off
	global_load_dword v109, v99, s[6:7] offset:3168
	v_add_co_u32_e32 v0, vcc, s16, v0
	v_addc_co_u32_e32 v1, vcc, v1, v7, vcc
	global_load_dword v13, v[0:1], off
	global_load_dword v108, v99, s[6:7] offset:3564
	v_add_co_u32_e32 v0, vcc, s16, v0
	v_addc_co_u32_e32 v1, vcc, v1, v7, vcc
	v_add_co_u32_e32 v2, vcc, s16, v0
	global_load_dword v14, v[0:1], off
	global_load_dword v107, v99, s[6:7] offset:3960
	v_addc_co_u32_e32 v3, vcc, v1, v7, vcc
	v_add_co_u32_e32 v0, vcc, s0, v16
	global_load_dword v15, v[2:3], off
	v_addc_co_u32_e32 v1, vcc, 0, v17, vcc
	global_load_dword v106, v[0:1], off offset:260
	v_add_co_u32_e32 v2, vcc, s16, v2
	v_addc_co_u32_e32 v3, vcc, v3, v7, vcc
	global_load_dword v21, v[2:3], off
	global_load_dword v105, v[0:1], off offset:656
	v_add_co_u32_e32 v2, vcc, s16, v2
	v_addc_co_u32_e32 v3, vcc, v3, v7, vcc
	global_load_dword v22, v[2:3], off
	;; [unrolled: 4-line block ×4, first 2 shown]
	global_load_dword v101, v[0:1], off offset:1844
	s_waitcnt vmcnt(23)
	v_lshrrev_b32_e32 v19, 16, v10
	s_waitcnt vmcnt(22)
	v_mul_f16_sdwa v20, v113, v19 dst_sel:DWORD dst_unused:UNUSED_PAD src0_sel:WORD_1 src1_sel:DWORD
	v_add_co_u32_e32 v2, vcc, s16, v2
	v_fma_f16 v20, v113, v10, v20
	v_mul_f16_sdwa v10, v113, v10 dst_sel:DWORD dst_unused:UNUSED_PAD src0_sel:WORD_1 src1_sel:DWORD
	v_addc_co_u32_e32 v3, vcc, v3, v7, vcc
	v_fma_f16 v10, v113, v19, -v10
	global_load_dword v19, v[2:3], off
	global_load_dword v102, v[0:1], off offset:2240
	s_waitcnt vmcnt(20)
	v_lshrrev_b32_e32 v7, 16, v11
	v_pack_b32_f16 v10, v20, v10
	v_mul_f16_sdwa v20, v112, v7 dst_sel:DWORD dst_unused:UNUSED_PAD src0_sel:WORD_1 src1_sel:DWORD
	v_fma_f16 v20, v112, v11, v20
	v_mul_f16_sdwa v11, v112, v11 dst_sel:DWORD dst_unused:UNUSED_PAD src0_sel:WORD_1 src1_sel:DWORD
	v_fma_f16 v7, v112, v7, -v11
	v_pack_b32_f16 v11, v20, v7
	v_add_u32_e32 v7, 0x400, v99
	ds_write2_b32 v7, v10, v11 offset0:140 offset1:239
	s_waitcnt vmcnt(19)
	v_lshrrev_b32_e32 v10, 16, v12
	v_mul_f16_sdwa v11, v111, v10 dst_sel:DWORD dst_unused:UNUSED_PAD src0_sel:WORD_1 src1_sel:DWORD
	v_fma_f16 v11, v111, v12, v11
	v_mul_f16_sdwa v12, v111, v12 dst_sel:DWORD dst_unused:UNUSED_PAD src0_sel:WORD_1 src1_sel:DWORD
	v_fma_f16 v10, v111, v10, -v12
	v_pack_b32_f16 v10, v11, v10
	v_cmp_gt_u16_e32 vcc, 48, v100
	s_waitcnt vmcnt(18)
	v_lshrrev_b32_e32 v11, 16, v8
	v_mul_f16_sdwa v12, v110, v11 dst_sel:DWORD dst_unused:UNUSED_PAD src0_sel:WORD_1 src1_sel:DWORD
	v_fma_f16 v12, v110, v8, v12
	v_mul_f16_sdwa v8, v110, v8 dst_sel:DWORD dst_unused:UNUSED_PAD src0_sel:WORD_1 src1_sel:DWORD
	v_fma_f16 v8, v110, v11, -v8
	v_pack_b32_f16 v11, v12, v8
	v_add_u32_e32 v8, 0x800, v99
	ds_write2_b32 v8, v10, v11 offset0:82 offset1:181
	s_waitcnt vmcnt(17)
	v_lshrrev_b32_e32 v10, 16, v9
	s_waitcnt vmcnt(16)
	v_mul_f16_sdwa v11, v109, v10 dst_sel:DWORD dst_unused:UNUSED_PAD src0_sel:WORD_1 src1_sel:DWORD
	v_fma_f16 v11, v109, v9, v11
	v_mul_f16_sdwa v9, v109, v9 dst_sel:DWORD dst_unused:UNUSED_PAD src0_sel:WORD_1 src1_sel:DWORD
	v_fma_f16 v9, v109, v10, -v9
	v_pack_b32_f16 v10, v11, v9
	s_waitcnt vmcnt(15)
	v_lshrrev_b32_e32 v9, 16, v13
	s_waitcnt vmcnt(14)
	v_mul_f16_sdwa v11, v108, v9 dst_sel:DWORD dst_unused:UNUSED_PAD src0_sel:WORD_1 src1_sel:DWORD
	v_mul_f16_sdwa v12, v108, v13 dst_sel:DWORD dst_unused:UNUSED_PAD src0_sel:WORD_1 src1_sel:DWORD
	v_fma_f16 v11, v108, v13, v11
	v_fma_f16 v9, v108, v9, -v12
	v_pack_b32_f16 v11, v11, v9
	v_add_u32_e32 v9, 0xc00, v99
	ds_write2_b32 v9, v10, v11 offset0:24 offset1:123
	s_waitcnt vmcnt(13)
	v_lshrrev_b32_e32 v10, 16, v14
	s_waitcnt vmcnt(12)
	v_mul_f16_sdwa v11, v107, v10 dst_sel:DWORD dst_unused:UNUSED_PAD src0_sel:WORD_1 src1_sel:DWORD
	v_mul_f16_sdwa v12, v107, v14 dst_sel:DWORD dst_unused:UNUSED_PAD src0_sel:WORD_1 src1_sel:DWORD
	v_fma_f16 v11, v107, v14, v11
	v_fma_f16 v10, v107, v10, -v12
	v_pack_b32_f16 v11, v11, v10
	s_waitcnt vmcnt(11)
	v_lshrrev_b32_e32 v10, 16, v15
	s_waitcnt vmcnt(10)
	v_mul_f16_sdwa v12, v106, v10 dst_sel:DWORD dst_unused:UNUSED_PAD src0_sel:WORD_1 src1_sel:DWORD
	v_mul_f16_sdwa v13, v106, v15 dst_sel:DWORD dst_unused:UNUSED_PAD src0_sel:WORD_1 src1_sel:DWORD
	v_fma_f16 v12, v106, v15, v12
	v_fma_f16 v10, v106, v10, -v13
	v_pack_b32_f16 v12, v12, v10
	v_add_u32_e32 v10, 0xe00, v99
	ds_write2_b32 v10, v11, v12 offset0:94 offset1:193
	s_waitcnt vmcnt(9)
	v_lshrrev_b32_e32 v11, 16, v21
	s_waitcnt vmcnt(8)
	v_mul_f16_sdwa v12, v105, v11 dst_sel:DWORD dst_unused:UNUSED_PAD src0_sel:WORD_1 src1_sel:DWORD
	v_mul_f16_sdwa v13, v105, v21 dst_sel:DWORD dst_unused:UNUSED_PAD src0_sel:WORD_1 src1_sel:DWORD
	v_fma_f16 v12, v105, v21, v12
	;; [unrolled: 18-line block ×4, first 2 shown]
	v_fma_f16 v13, v102, v13, -v15
	v_pack_b32_f16 v13, v14, v13
	ds_write_b32 v99, v13 offset:6336
	s_and_saveexec_b64 s[2:3], vcc
	s_cbranch_execz .LBB0_3
; %bb.2:
	v_mov_b32_e32 v13, 0xffffe80c
	v_mad_u64_u32 v[2:3], s[0:1], s12, v13, v[2:3]
	s_mul_i32 s0, s13, 0xffffe80c
	s_sub_i32 s0, s0, s12
	v_add_u32_e32 v3, s0, v3
	global_load_dword v13, v[2:3], off
	global_load_dword v14, v[16:17], off offset:204
	v_mov_b32_e32 v19, s17
	v_add_co_u32_e64 v2, s[0:1], s16, v2
	v_addc_co_u32_e64 v3, s[0:1], v3, v19, s[0:1]
	global_load_dword v15, v[2:3], off
	global_load_dword v20, v[16:17], off offset:600
	v_add_co_u32_e64 v2, s[0:1], s16, v2
	v_addc_co_u32_e64 v3, s[0:1], v3, v19, s[0:1]
	global_load_dword v21, v[2:3], off
	global_load_dword v22, v[16:17], off offset:996
	;; [unrolled: 4-line block ×4, first 2 shown]
	global_load_dword v27, v[16:17], off offset:2184
	global_load_dword v28, v[16:17], off offset:2580
	;; [unrolled: 1-line block ×5, first 2 shown]
	v_add_co_u32_e64 v2, s[0:1], s16, v2
	v_addc_co_u32_e64 v3, s[0:1], v3, v19, s[0:1]
	global_load_dword v32, v[2:3], off
	v_add_co_u32_e64 v2, s[0:1], s16, v2
	v_addc_co_u32_e64 v3, s[0:1], v3, v19, s[0:1]
	global_load_dword v33, v[2:3], off
	;; [unrolled: 3-line block ×5, first 2 shown]
	v_add_co_u32_e64 v2, s[0:1], s16, v2
	v_addc_co_u32_e64 v3, s[0:1], v3, v19, s[0:1]
	s_waitcnt vmcnt(19)
	v_lshrrev_b32_e32 v37, 16, v13
	s_waitcnt vmcnt(18)
	v_mul_f16_sdwa v38, v14, v13 dst_sel:DWORD dst_unused:UNUSED_PAD src0_sel:WORD_1 src1_sel:DWORD
	v_mul_f16_sdwa v39, v14, v37 dst_sel:DWORD dst_unused:UNUSED_PAD src0_sel:WORD_1 src1_sel:DWORD
	v_fma_f16 v37, v14, v37, -v38
	v_fma_f16 v13, v14, v13, v39
	v_pack_b32_f16 v13, v13, v37
	s_waitcnt vmcnt(17)
	v_lshrrev_b32_e32 v38, 16, v15
	s_waitcnt vmcnt(16)
	v_mul_f16_sdwa v40, v20, v15 dst_sel:DWORD dst_unused:UNUSED_PAD src0_sel:WORD_1 src1_sel:DWORD
	v_mul_f16_sdwa v14, v20, v38 dst_sel:DWORD dst_unused:UNUSED_PAD src0_sel:WORD_1 src1_sel:DWORD
	v_fma_f16 v38, v20, v38, -v40
	v_fma_f16 v14, v20, v15, v14
	s_waitcnt vmcnt(15)
	v_lshrrev_b32_e32 v39, 16, v21
	s_waitcnt vmcnt(14)
	v_mul_f16_sdwa v40, v22, v21 dst_sel:DWORD dst_unused:UNUSED_PAD src0_sel:WORD_1 src1_sel:DWORD
	v_mul_f16_sdwa v15, v22, v39 dst_sel:DWORD dst_unused:UNUSED_PAD src0_sel:WORD_1 src1_sel:DWORD
	v_fma_f16 v20, v22, v39, -v40
	v_pack_b32_f16 v14, v14, v38
	s_waitcnt vmcnt(13)
	v_lshrrev_b32_e32 v37, 16, v23
	s_waitcnt vmcnt(12)
	v_mul_f16_sdwa v39, v24, v23 dst_sel:DWORD dst_unused:UNUSED_PAD src0_sel:WORD_1 src1_sel:DWORD
	v_fma_f16 v15, v22, v21, v15
	v_mul_f16_sdwa v21, v24, v37 dst_sel:DWORD dst_unused:UNUSED_PAD src0_sel:WORD_1 src1_sel:DWORD
	v_fma_f16 v22, v24, v37, -v39
	ds_write2_b32 v99, v13, v14 offset0:51 offset1:150
	v_fma_f16 v14, v24, v23, v21
	v_pack_b32_f16 v13, v15, v20
	v_pack_b32_f16 v14, v14, v22
	global_load_dword v20, v[2:3], off
	v_add_co_u32_e64 v2, s[0:1], s16, v2
	ds_write2_b32 v4, v13, v14 offset0:121 offset1:220
	v_addc_co_u32_e64 v3, s[0:1], v3, v19, s[0:1]
	global_load_dword v21, v[2:3], off
	global_load_dword v22, v[0:1], off offset:68
	global_load_dword v23, v[0:1], off offset:464
	v_add_co_u32_e64 v2, s[0:1], s16, v2
	v_addc_co_u32_e64 v3, s[0:1], v3, v19, s[0:1]
	global_load_dword v24, v[2:3], off
	v_add_co_u32_e64 v2, s[0:1], s16, v2
	v_or_b32_e32 v38, 0x600, v100
	v_addc_co_u32_e64 v3, s[0:1], v3, v19, s[0:1]
	v_mad_u64_u32 v[13:14], s[0:1], s12, v38, 0
	global_load_dword v39, v[2:3], off
	global_load_dword v40, v[0:1], off offset:860
	global_load_dword v41, v[0:1], off offset:1256
	s_waitcnt vmcnt(19)
	v_lshrrev_b32_e32 v37, 16, v25
	v_mad_u64_u32 v[14:15], s[0:1], s13, v38, v[14:15]
	v_add_co_u32_e64 v2, s[0:1], s16, v2
	v_lshlrev_b64 v[13:14], 2, v[13:14]
	v_addc_co_u32_e64 v3, s[0:1], v3, v19, s[0:1]
	global_load_dword v15, v[2:3], off
	global_load_dword v19, v[0:1], off offset:1652
	v_add_co_u32_e64 v5, s[0:1], v5, v13
	v_addc_co_u32_e64 v6, s[0:1], v6, v14, s[0:1]
	v_mov_b32_e32 v13, 0x318
	global_load_dword v5, v[5:6], off
	v_lshlrev_b32_e32 v6, 2, v38
	v_mad_u64_u32 v[2:3], s[0:1], s12, v13, v[2:3]
	global_load_dword v6, v6, s[6:7]
	s_mul_i32 s0, s13, 0x318
	v_add_u32_e32 v3, s0, v3
	global_load_dword v14, v[2:3], off
	global_load_dword v38, v[0:1], off offset:2444
	s_waitcnt vmcnt(18)
	v_lshrrev_b32_e32 v1, 16, v32
	v_mul_f16_sdwa v13, v26, v37 dst_sel:DWORD dst_unused:UNUSED_PAD src0_sel:WORD_1 src1_sel:DWORD
	v_mul_f16_sdwa v0, v26, v25 dst_sel:DWORD dst_unused:UNUSED_PAD src0_sel:WORD_1 src1_sel:DWORD
	;; [unrolled: 1-line block ×4, first 2 shown]
	v_fma_f16 v13, v26, v25, v13
	v_fma_f16 v0, v26, v37, -v0
	v_fma_f16 v2, v27, v32, v2
	v_fma_f16 v1, v27, v1, -v3
	v_pack_b32_f16 v0, v13, v0
	v_pack_b32_f16 v1, v2, v1
	v_add_u32_e32 v2, 0x600, v99
	ds_write2_b32 v2, v0, v1 offset0:63 offset1:162
	s_waitcnt vmcnt(17)
	v_lshrrev_b32_e32 v0, 16, v33
	v_mul_f16_sdwa v1, v28, v0 dst_sel:DWORD dst_unused:UNUSED_PAD src0_sel:WORD_1 src1_sel:DWORD
	v_mul_f16_sdwa v2, v28, v33 dst_sel:DWORD dst_unused:UNUSED_PAD src0_sel:WORD_1 src1_sel:DWORD
	v_fma_f16 v1, v28, v33, v1
	v_fma_f16 v0, v28, v0, -v2
	v_pack_b32_f16 v0, v1, v0
	s_waitcnt vmcnt(16)
	v_lshrrev_b32_e32 v1, 16, v34
	v_mul_f16_sdwa v2, v29, v1 dst_sel:DWORD dst_unused:UNUSED_PAD src0_sel:WORD_1 src1_sel:DWORD
	v_mul_f16_sdwa v3, v29, v34 dst_sel:DWORD dst_unused:UNUSED_PAD src0_sel:WORD_1 src1_sel:DWORD
	v_fma_f16 v2, v29, v34, v2
	v_fma_f16 v1, v29, v1, -v3
	v_pack_b32_f16 v1, v2, v1
	ds_write2_b32 v8, v0, v1 offset0:133 offset1:232
	s_waitcnt vmcnt(15)
	v_lshrrev_b32_e32 v0, 16, v35
	v_mul_f16_sdwa v1, v30, v0 dst_sel:DWORD dst_unused:UNUSED_PAD src0_sel:WORD_1 src1_sel:DWORD
	v_mul_f16_sdwa v2, v30, v35 dst_sel:DWORD dst_unused:UNUSED_PAD src0_sel:WORD_1 src1_sel:DWORD
	v_fma_f16 v1, v30, v35, v1
	v_fma_f16 v0, v30, v0, -v2
	v_pack_b32_f16 v0, v1, v0
	s_waitcnt vmcnt(14)
	v_lshrrev_b32_e32 v1, 16, v36
	v_mul_f16_sdwa v2, v31, v1 dst_sel:DWORD dst_unused:UNUSED_PAD src0_sel:WORD_1 src1_sel:DWORD
	v_mul_f16_sdwa v3, v31, v36 dst_sel:DWORD dst_unused:UNUSED_PAD src0_sel:WORD_1 src1_sel:DWORD
	v_fma_f16 v2, v31, v36, v2
	v_fma_f16 v1, v31, v1, -v3
	v_pack_b32_f16 v1, v2, v1
	ds_write2_b32 v9, v0, v1 offset0:75 offset1:174
	s_waitcnt vmcnt(13)
	v_lshrrev_b32_e32 v0, 16, v20
	s_waitcnt vmcnt(11)
	v_mul_f16_sdwa v1, v22, v0 dst_sel:DWORD dst_unused:UNUSED_PAD src0_sel:WORD_1 src1_sel:DWORD
	v_mul_f16_sdwa v2, v22, v20 dst_sel:DWORD dst_unused:UNUSED_PAD src0_sel:WORD_1 src1_sel:DWORD
	v_fma_f16 v1, v22, v20, v1
	v_fma_f16 v0, v22, v0, -v2
	v_pack_b32_f16 v0, v1, v0
	v_lshrrev_b32_e32 v1, 16, v21
	s_waitcnt vmcnt(10)
	v_mul_f16_sdwa v2, v23, v1 dst_sel:DWORD dst_unused:UNUSED_PAD src0_sel:WORD_1 src1_sel:DWORD
	v_mul_f16_sdwa v3, v23, v21 dst_sel:DWORD dst_unused:UNUSED_PAD src0_sel:WORD_1 src1_sel:DWORD
	v_fma_f16 v2, v23, v21, v2
	v_fma_f16 v1, v23, v1, -v3
	v_pack_b32_f16 v1, v2, v1
	v_add_u32_e32 v2, 0x1000, v99
	ds_write2_b32 v2, v0, v1 offset0:17 offset1:116
	s_waitcnt vmcnt(9)
	v_lshrrev_b32_e32 v0, 16, v24
	s_waitcnt vmcnt(7)
	v_mul_f16_sdwa v1, v40, v0 dst_sel:DWORD dst_unused:UNUSED_PAD src0_sel:WORD_1 src1_sel:DWORD
	v_mul_f16_sdwa v2, v40, v24 dst_sel:DWORD dst_unused:UNUSED_PAD src0_sel:WORD_1 src1_sel:DWORD
	v_fma_f16 v1, v40, v24, v1
	v_fma_f16 v0, v40, v0, -v2
	v_pack_b32_f16 v0, v1, v0
	v_lshrrev_b32_e32 v1, 16, v39
	s_waitcnt vmcnt(6)
	v_mul_f16_sdwa v2, v41, v1 dst_sel:DWORD dst_unused:UNUSED_PAD src0_sel:WORD_1 src1_sel:DWORD
	v_mul_f16_sdwa v3, v41, v39 dst_sel:DWORD dst_unused:UNUSED_PAD src0_sel:WORD_1 src1_sel:DWORD
	v_fma_f16 v2, v41, v39, v2
	v_fma_f16 v1, v41, v1, -v3
	v_pack_b32_f16 v1, v2, v1
	ds_write2_b32 v11, v0, v1 offset0:87 offset1:186
	s_waitcnt vmcnt(5)
	v_lshrrev_b32_e32 v0, 16, v15
	s_waitcnt vmcnt(4)
	v_mul_f16_sdwa v1, v19, v0 dst_sel:DWORD dst_unused:UNUSED_PAD src0_sel:WORD_1 src1_sel:DWORD
	v_mul_f16_sdwa v2, v19, v15 dst_sel:DWORD dst_unused:UNUSED_PAD src0_sel:WORD_1 src1_sel:DWORD
	v_fma_f16 v1, v19, v15, v1
	v_fma_f16 v0, v19, v0, -v2
	v_pack_b32_f16 v0, v1, v0
	s_waitcnt vmcnt(3)
	v_lshrrev_b32_e32 v1, 16, v5
	s_waitcnt vmcnt(2)
	v_mul_f16_sdwa v2, v6, v1 dst_sel:DWORD dst_unused:UNUSED_PAD src0_sel:WORD_1 src1_sel:DWORD
	v_mul_f16_sdwa v3, v6, v5 dst_sel:DWORD dst_unused:UNUSED_PAD src0_sel:WORD_1 src1_sel:DWORD
	v_fma_f16 v2, v6, v5, v2
	v_fma_f16 v1, v6, v1, -v3
	v_pack_b32_f16 v1, v2, v1
	v_add_u32_e32 v2, 0x1600, v99
	ds_write2_b32 v2, v0, v1 offset0:29 offset1:128
	s_waitcnt vmcnt(1)
	v_lshrrev_b32_e32 v0, 16, v14
	s_waitcnt vmcnt(0)
	v_mul_f16_sdwa v1, v38, v0 dst_sel:DWORD dst_unused:UNUSED_PAD src0_sel:WORD_1 src1_sel:DWORD
	v_mul_f16_sdwa v2, v38, v14 dst_sel:DWORD dst_unused:UNUSED_PAD src0_sel:WORD_1 src1_sel:DWORD
	v_fma_f16 v1, v38, v14, v1
	v_fma_f16 v0, v38, v0, -v2
	v_pack_b32_f16 v0, v1, v0
	ds_write_b32 v99, v0 offset:6540
.LBB0_3:
	s_or_b64 exec, exec, s[2:3]
	s_waitcnt lgkmcnt(0)
	; wave barrier
	s_waitcnt lgkmcnt(0)
	ds_read2_b32 v[19:20], v99 offset1:99
	ds_read2_b32 v[31:32], v4 offset0:70 offset1:169
	ds_read2_b32 v[27:28], v7 offset0:140 offset1:239
	;; [unrolled: 1-line block ×7, first 2 shown]
	ds_read_b32 v36, v99 offset:6336
	s_load_dwordx2 s[2:3], s[4:5], 0x8
	v_mov_b32_e32 v0, 0
                                        ; implicit-def: $vgpr35
                                        ; implicit-def: $vgpr11
                                        ; implicit-def: $vgpr9
                                        ; implicit-def: $vgpr7
                                        ; implicit-def: $vgpr5
                                        ; implicit-def: $vgpr3
                                        ; implicit-def: $vgpr13
                                        ; implicit-def: $vgpr15
                                        ; implicit-def: $vgpr14
	s_and_saveexec_b64 s[0:1], vcc
	s_cbranch_execz .LBB0_5
; %bb.4:
	v_add_u32_e32 v2, 0x200, v99
	ds_read2_b32 v[14:15], v2 offset0:121 offset1:220
	v_add_u32_e32 v2, 0x600, v99
	ds_read2_b32 v[12:13], v2 offset0:63 offset1:162
	v_add_u32_e32 v2, 0x800, v99
	v_add_u32_e32 v4, 0xc00, v99
	;; [unrolled: 1-line block ×5, first 2 shown]
	ds_read2_b32 v[0:1], v99 offset0:51 offset1:150
	ds_read2_b32 v[2:3], v2 offset0:133 offset1:232
	;; [unrolled: 1-line block ×6, first 2 shown]
	ds_read_b32 v35, v99 offset:6540
	s_waitcnt lgkmcnt(0)
	v_alignbit_b32 v14, v14, v14, 16
.LBB0_5:
	s_or_b64 exec, exec, s[0:1]
	s_waitcnt lgkmcnt(0)
	v_pk_add_f16 v37, v19, v20
	v_pk_add_f16 v37, v37, v31
	;; [unrolled: 1-line block ×15, first 2 shown]
	s_mov_b32 s0, 0x3b7639e9
	v_pk_add_f16 v58, v37, v34
	v_pk_add_f16 v46, v20, v36 neg_lo:[0,1] neg_hi:[0,1]
	v_pk_mul_f16 v37, v48, s0
	s_mov_b32 s0, 0xb964b5c8
	v_pk_fma_f16 v45, v46, s0, v37 op_sel:[0,0,1] op_sel_hi:[1,1,0] neg_lo:[1,0,0] neg_hi:[1,0,0]
	v_pk_fma_f16 v50, v46, s0, v37 op_sel:[0,0,1] op_sel_hi:[1,1,0]
	s_mov_b32 s23, 0xffff
	s_mov_b32 s28, 0xb5c8
	s_movk_i32 s5, 0x39e9
	v_bfi_b32 v37, s23, v50, v45
	v_lshrrev_b32_e32 v53, 16, v48
	v_mul_f16_e32 v54, 0xb964, v46
	s_movk_i32 s4, 0x3b76
	s_mov_b32 s25, 0xb964
	v_mul_f16_sdwa v51, v46, s28 dst_sel:DWORD dst_unused:UNUSED_PAD src0_sel:WORD_1 src1_sel:DWORD
	v_pk_add_f16 v40, v19, v37 op_sel:[1,0] op_sel_hi:[0,1]
	v_fma_f16 v37, v53, s5, v54
	v_pk_add_f16 v56, v31, v34 neg_lo:[0,1] neg_hi:[0,1]
	v_fma_f16 v20, v48, s4, -v51
	v_add_f16_sdwa v41, v19, v37 dst_sel:DWORD dst_unused:UNUSED_PAD src0_sel:WORD_1 src1_sel:DWORD
	v_pk_add_f16 v37, v34, v31
	v_mul_f16_sdwa v38, v56, s25 dst_sel:DWORD dst_unused:UNUSED_PAD src0_sel:WORD_1 src1_sel:DWORD
	s_mov_b32 s0, 0x39e92de8
	v_add_f16_e32 v20, v19, v20
	v_fma_f16 v31, v37, s5, -v38
	v_pk_mul_f16 v34, v37, s0
	s_mov_b32 s0, 0xbbf7b964
	v_add_f16_e32 v31, v31, v20
	v_pk_fma_f16 v20, v56, s0, v34 op_sel:[0,0,1] op_sel_hi:[1,1,0] neg_lo:[1,0,0] neg_hi:[1,0,0]
	v_pk_fma_f16 v39, v56, s0, v34 op_sel:[0,0,1] op_sel_hi:[1,1,0]
	v_bfi_b32 v34, s23, v39, v20
	s_movk_i32 s16, 0x2de8
	v_pk_add_f16 v43, v34, v40
	v_lshrrev_b32_e32 v34, 16, v37
	v_mul_f16_e32 v40, 0xbbf7, v56
	s_mov_b32 s27, 0xbb29
	v_fma_f16 v42, v34, s16, v40
	v_pk_add_f16 v65, v32, v33 neg_lo:[0,1] neg_hi:[0,1]
	s_movk_i32 s12, 0x3722
	v_add_f16_e32 v44, v42, v41
	v_pk_add_f16 v41, v33, v32
	v_mul_f16_sdwa v33, v65, s27 dst_sel:DWORD dst_unused:UNUSED_PAD src0_sel:WORD_1 src1_sel:DWORD
	v_fma_f16 v32, v41, s12, -v33
	s_mov_b32 s0, 0x3722b8d2
	v_add_f16_e32 v49, v32, v31
	v_pk_mul_f16 v32, v41, s0
	s_mov_b32 s0, 0xba62bb29
	v_pk_fma_f16 v31, v65, s0, v32 op_sel:[0,0,1] op_sel_hi:[1,1,0] neg_lo:[1,0,0] neg_hi:[1,0,0]
	v_pk_fma_f16 v42, v65, s0, v32 op_sel:[0,0,1] op_sel_hi:[1,1,0]
	v_bfi_b32 v32, s23, v42, v31
	s_mov_b32 s20, 0xb8d2
	v_pk_add_f16 v52, v32, v43
	v_lshrrev_b32_e32 v32, 16, v41
	v_mul_f16_e32 v43, 0xba62, v65
	s_mov_b32 s26, 0xbbf7
	v_fma_f16 v47, v32, s20, v43
	v_pk_add_f16 v73, v27, v30 neg_lo:[0,1] neg_hi:[0,1]
	v_add_f16_e32 v55, v47, v44
	v_pk_add_f16 v44, v30, v27
	v_mul_f16_sdwa v47, v73, s26 dst_sel:DWORD dst_unused:UNUSED_PAD src0_sel:WORD_1 src1_sel:DWORD
	s_mov_b32 s0, 0x2de8bbdd
	v_fma_f16 v27, v44, s16, -v47
	v_pk_mul_f16 v30, v44, s0
	s_mov_b32 s0, 0xb1e1bbf7
	v_add_f16_e32 v59, v27, v49
	v_pk_fma_f16 v27, v73, s0, v30 op_sel:[0,0,1] op_sel_hi:[1,1,0] neg_lo:[1,0,0] neg_hi:[1,0,0]
	v_pk_fma_f16 v49, v73, s0, v30 op_sel:[0,0,1] op_sel_hi:[1,1,0]
	v_bfi_b32 v30, s23, v49, v27
	s_mov_b32 s24, 0xbbdd
	v_pk_add_f16 v60, v30, v52
	v_lshrrev_b32_e32 v30, 16, v44
	v_mul_f16_e32 v52, 0xb1e1, v73
	s_mov_b32 s13, 0xbbb2
	v_fma_f16 v57, v30, s24, v52
	v_pk_add_f16 v77, v28, v29 neg_lo:[0,1] neg_hi:[0,1]
	s_mov_b32 s18, 0xb461
	v_add_f16_e32 v61, v57, v55
	v_pk_add_f16 v55, v29, v28
	v_mul_f16_sdwa v57, v77, s13 dst_sel:DWORD dst_unused:UNUSED_PAD src0_sel:WORD_1 src1_sel:DWORD
	s_mov_b32 s0, 0xb461bacd
	v_fma_f16 v28, v55, s18, -v57
	v_pk_mul_f16 v29, v55, s0
	s_mov_b32 s0, 0x3836bbb2
	v_add_f16_e32 v62, v28, v59
	v_pk_fma_f16 v28, v77, s0, v29 op_sel:[0,0,1] op_sel_hi:[1,1,0] neg_lo:[1,0,0] neg_hi:[1,0,0]
	v_pk_fma_f16 v59, v77, s0, v29 op_sel:[0,0,1] op_sel_hi:[1,1,0]
	v_bfi_b32 v29, s23, v59, v28
	s_mov_b32 s22, 0xbacd
	v_pk_add_f16 v66, v29, v60
	v_lshrrev_b32_e32 v29, 16, v55
	v_mul_f16_e32 v60, 0x3836, v77
	v_fma_f16 v63, v29, s22, v60
	s_mov_b32 s17, 0xba62
	v_add_f16_e32 v67, v63, v61
	v_pk_add_f16 v61, v26, v23
	v_pk_add_f16 v26, v23, v26 neg_lo:[0,1] neg_hi:[0,1]
	v_mul_f16_sdwa v63, v26, s17 dst_sel:DWORD dst_unused:UNUSED_PAD src0_sel:WORD_1 src1_sel:DWORD
	v_fma_f16 v23, v61, s20, -v63
	s_mov_b32 s0, 0xb8d2b461
	v_add_f16_e32 v68, v23, v62
	v_pk_mul_f16 v62, v61, s0
	s_mov_b32 s0, 0x3bb2ba62
	v_pk_fma_f16 v23, v26, s0, v62 op_sel:[0,0,1] op_sel_hi:[1,1,0] neg_lo:[1,0,0] neg_hi:[1,0,0]
	v_pk_fma_f16 v64, v26, s0, v62 op_sel:[0,0,1] op_sel_hi:[1,1,0]
	v_bfi_b32 v62, s23, v64, v23
	v_pk_add_f16 v70, v62, v66
	v_lshrrev_b32_e32 v62, 16, v61
	v_mul_f16_e32 v66, 0x3bb2, v26
	v_fma_f16 v69, v62, s18, v66
	s_mov_b32 s19, 0xb836
	v_add_f16_e32 v74, v69, v67
	v_pk_add_f16 v69, v25, v24
	v_pk_add_f16 v24, v24, v25 neg_lo:[0,1] neg_hi:[0,1]
	v_mul_f16_sdwa v71, v24, s19 dst_sel:DWORD dst_unused:UNUSED_PAD src0_sel:WORD_1 src1_sel:DWORD
	s_mov_b32 s0, 0xbacd3722
	v_fma_f16 v25, v69, s22, -v71
	v_pk_mul_f16 v67, v69, s0
	s_mov_b32 s0, 0x3b29b836
	v_add_f16_e32 v25, v25, v68
	v_pk_fma_f16 v68, v24, s0, v67 op_sel:[0,0,1] op_sel_hi:[1,1,0] neg_lo:[1,0,0] neg_hi:[1,0,0]
	v_pk_fma_f16 v67, v24, s0, v67 op_sel:[0,0,1] op_sel_hi:[1,1,0]
	v_bfi_b32 v72, s23, v67, v68
	v_pk_add_f16 v80, v72, v70
	v_lshrrev_b32_e32 v70, 16, v69
	v_mul_f16_e32 v72, 0x3b29, v24
	v_fma_f16 v75, v70, s12, v72
	v_pk_add_f16 v76, v22, v21
	s_mov_b32 s0, 0xbbdd3b76
	v_add_f16_e32 v81, v75, v74
	v_pk_add_f16 v74, v21, v22 neg_lo:[0,1] neg_hi:[0,1]
	v_pk_mul_f16 v75, v76, s0
	s_mov_b32 s37, 0x35c8b1e1
	s_mov_b32 s21, 0xb1e1
	v_pk_fma_f16 v79, v74, s37, v75 op_sel:[0,0,1] op_sel_hi:[1,1,0] neg_lo:[1,0,0] neg_hi:[1,0,0]
	v_pk_fma_f16 v22, v74, s37, v75 op_sel:[0,0,1] op_sel_hi:[1,1,0]
	v_mul_f16_sdwa v78, v74, s21 dst_sel:DWORD dst_unused:UNUSED_PAD src0_sel:WORD_1 src1_sel:DWORD
	v_bfi_b32 v22, s23, v22, v79
	v_fma_f16 v21, v76, s24, -v78
	v_pk_add_f16 v22, v22, v80
	v_lshrrev_b32_e32 v80, 16, v76
	v_mul_f16_e32 v83, 0x35c8, v74
	v_add_f16_e32 v21, v21, v25
	v_fma_f16 v25, v80, s4, v83
	v_add_f16_e32 v25, v25, v81
	v_alignbit_b32 v25, v25, v22, 16
	v_pack_b32_f16 v21, v21, v22
	v_mul_lo_u16_e32 v22, 17, v100
	v_lshlrev_b32_e32 v119, 2, v22
	s_waitcnt lgkmcnt(0)
	; wave barrier
	ds_write2_b32 v119, v21, v25 offset0:1 offset1:2
	v_mul_f16_sdwa v21, v46, s27 dst_sel:DWORD dst_unused:UNUSED_PAD src0_sel:WORD_1 src1_sel:DWORD
	v_fma_f16 v22, v48, s12, -v21
	v_mul_f16_sdwa v118, v56, s17 dst_sel:DWORD dst_unused:UNUSED_PAD src0_sel:WORD_1 src1_sel:DWORD
	v_add_f16_e32 v22, v19, v22
	v_fma_f16 v25, v37, s20, -v118
	v_add_f16_e32 v22, v25, v22
	v_mul_f16_e32 v25, 0xbb29, v46
	v_fma_f16 v81, v53, s12, v25
	v_mul_f16_e32 v126, 0xba62, v56
	v_add_f16_sdwa v81, v19, v81 dst_sel:DWORD dst_unused:UNUSED_PAD src0_sel:WORD_1 src1_sel:DWORD
	v_fma_f16 v82, v34, s20, v126
	v_add_f16_e32 v81, v82, v81
	v_mul_f16_sdwa v82, v46, s26 dst_sel:DWORD dst_unused:UNUSED_PAD src0_sel:WORD_1 src1_sel:DWORD
	v_fma_f16 v84, v48, s16, -v82
	v_mul_f16_sdwa v127, v56, s21 dst_sel:DWORD dst_unused:UNUSED_PAD src0_sel:WORD_1 src1_sel:DWORD
	v_add_f16_e32 v84, v19, v84
	v_fma_f16 v85, v37, s24, -v127
	v_add_f16_e32 v84, v85, v84
	v_mul_f16_e32 v85, 0xbbf7, v46
	v_fma_f16 v86, v53, s16, v85
	v_mul_f16_e32 v128, 0xb1e1, v56
	s_movk_i32 s38, 0x31e1
	v_add_f16_sdwa v86, v19, v86 dst_sel:DWORD dst_unused:UNUSED_PAD src0_sel:WORD_1 src1_sel:DWORD
	v_fma_f16 v87, v34, s24, v128
	v_mul_f16_sdwa v129, v65, s38 dst_sel:DWORD dst_unused:UNUSED_PAD src0_sel:WORD_1 src1_sel:DWORD
	v_add_f16_e32 v86, v87, v86
	v_fma_f16 v87, v41, s24, -v129
	v_mul_f16_e32 v130, 0x31e1, v65
	s_movk_i32 s34, 0x3bb2
	v_add_f16_e32 v22, v87, v22
	v_fma_f16 v87, v32, s24, v130
	v_mul_f16_sdwa v131, v65, s34 dst_sel:DWORD dst_unused:UNUSED_PAD src0_sel:WORD_1 src1_sel:DWORD
	v_add_f16_e32 v81, v87, v81
	v_fma_f16 v87, v41, s18, -v131
	v_mul_f16_e32 v132, 0x3bb2, v65
	v_add_f16_e32 v84, v87, v84
	v_fma_f16 v87, v32, s18, v132
	v_mul_f16_sdwa v133, v73, s34 dst_sel:DWORD dst_unused:UNUSED_PAD src0_sel:WORD_1 src1_sel:DWORD
	v_add_f16_e32 v86, v87, v86
	v_fma_f16 v87, v44, s18, -v133
	v_mul_f16_e32 v134, 0x3bb2, v73
	s_movk_i32 s30, 0x35c8
	v_add_f16_e32 v22, v87, v22
	v_fma_f16 v87, v30, s18, v134
	v_mul_f16_sdwa v135, v73, s30 dst_sel:DWORD dst_unused:UNUSED_PAD src0_sel:WORD_1 src1_sel:DWORD
	v_add_f16_e32 v81, v87, v81
	v_fma_f16 v87, v44, s4, -v135
	v_mul_f16_e32 v136, 0x35c8, v73
	s_movk_i32 s29, 0x3964
	v_add_f16_e32 v84, v87, v84
	v_fma_f16 v87, v30, s4, v136
	v_mul_f16_sdwa v137, v77, s29 dst_sel:DWORD dst_unused:UNUSED_PAD src0_sel:WORD_1 src1_sel:DWORD
	v_add_f16_e32 v86, v87, v86
	v_fma_f16 v87, v55, s5, -v137
	v_mul_f16_e32 v138, 0x3964, v77
	v_add_f16_e32 v22, v87, v22
	v_fma_f16 v87, v29, s5, v138
	v_mul_f16_sdwa v139, v77, s27 dst_sel:DWORD dst_unused:UNUSED_PAD src0_sel:WORD_1 src1_sel:DWORD
	v_add_f16_e32 v81, v87, v81
	v_fma_f16 v87, v55, s12, -v139
	v_mul_f16_e32 v140, 0xbb29, v77
	;; [unrolled: 6-line block ×5, first 2 shown]
	s_movk_i32 s36, 0x3a62
	v_add_f16_e32 v22, v87, v22
	v_fma_f16 v87, v70, s16, v146
	v_mul_f16_sdwa v147, v24, s36 dst_sel:DWORD dst_unused:UNUSED_PAD src0_sel:WORD_1 src1_sel:DWORD
	v_add_f16_e32 v81, v87, v81
	v_fma_f16 v87, v69, s20, -v147
	v_mul_f16_e32 v148, 0x3a62, v24
	v_add_f16_e32 v84, v87, v84
	v_fma_f16 v87, v70, s20, v148
	v_mul_f16_sdwa v149, v74, s19 dst_sel:DWORD dst_unused:UNUSED_PAD src0_sel:WORD_1 src1_sel:DWORD
	v_add_f16_e32 v86, v87, v86
	v_fma_f16 v87, v76, s22, -v149
	v_mul_f16_e32 v150, 0xbacd, v80
	;; [unrolled: 6-line block ×3, first 2 shown]
	v_add_f16_e32 v84, v87, v84
	v_fma_f16 v87, v80, s5, v152
	v_add_f16_e32 v86, v87, v86
	v_pack_b32_f16 v84, v84, v86
	v_pack_b32_f16 v22, v22, v81
	ds_write2_b32 v119, v22, v84 offset0:3 offset1:4
	v_mul_f16_sdwa v22, v46, s13 dst_sel:DWORD dst_unused:UNUSED_PAD src0_sel:WORD_1 src1_sel:DWORD
	s_movk_i32 s35, 0x3836
	v_fma_f16 v81, v48, s18, -v22
	v_mul_f16_sdwa v153, v56, s35 dst_sel:DWORD dst_unused:UNUSED_PAD src0_sel:WORD_1 src1_sel:DWORD
	v_add_f16_e32 v81, v19, v81
	v_fma_f16 v84, v37, s22, -v153
	v_add_f16_e32 v81, v84, v81
	v_mul_f16_e32 v84, 0xbbb2, v46
	v_fma_f16 v86, v53, s18, v84
	v_mul_f16_e32 v154, 0x3836, v56
	v_add_f16_sdwa v86, v19, v86 dst_sel:DWORD dst_unused:UNUSED_PAD src0_sel:WORD_1 src1_sel:DWORD
	v_fma_f16 v87, v34, s22, v154
	v_add_f16_e32 v86, v87, v86
	v_mul_f16_sdwa v87, v46, s17 dst_sel:DWORD dst_unused:UNUSED_PAD src0_sel:WORD_1 src1_sel:DWORD
	v_fma_f16 v88, v48, s20, -v87
	v_mul_f16_sdwa v89, v56, s34 dst_sel:DWORD dst_unused:UNUSED_PAD src0_sel:WORD_1 src1_sel:DWORD
	v_add_f16_e32 v88, v19, v88
	v_fma_f16 v90, v37, s18, -v89
	v_add_f16_e32 v88, v90, v88
	v_mul_f16_e32 v90, 0xba62, v46
	v_fma_f16 v91, v53, s20, v90
	v_mul_f16_e32 v92, 0x3bb2, v56
	v_add_f16_sdwa v91, v19, v91 dst_sel:DWORD dst_unused:UNUSED_PAD src0_sel:WORD_1 src1_sel:DWORD
	v_fma_f16 v93, v34, s18, v92
	v_mul_f16_sdwa v155, v65, s29 dst_sel:DWORD dst_unused:UNUSED_PAD src0_sel:WORD_1 src1_sel:DWORD
	v_add_f16_e32 v91, v93, v91
	v_fma_f16 v93, v41, s5, -v155
	v_mul_f16_e32 v156, 0x3964, v65
	v_add_f16_e32 v81, v93, v81
	v_fma_f16 v93, v32, s5, v156
	v_add_f16_e32 v86, v93, v86
	v_mul_f16_sdwa v93, v65, s28 dst_sel:DWORD dst_unused:UNUSED_PAD src0_sel:WORD_1 src1_sel:DWORD
	v_fma_f16 v94, v41, s4, -v93
	v_add_f16_e32 v88, v94, v88
	v_mul_f16_e32 v94, 0xb5c8, v65
	v_fma_f16 v95, v32, s4, v94
	v_mul_f16_sdwa v157, v73, s27 dst_sel:DWORD dst_unused:UNUSED_PAD src0_sel:WORD_1 src1_sel:DWORD
	v_add_f16_e32 v91, v95, v91
	v_fma_f16 v95, v44, s12, -v157
	v_mul_f16_e32 v158, 0xbb29, v73
	v_add_f16_e32 v81, v95, v81
	v_fma_f16 v95, v30, s12, v158
	v_add_f16_e32 v86, v95, v86
	v_mul_f16_sdwa v95, v73, s19 dst_sel:DWORD dst_unused:UNUSED_PAD src0_sel:WORD_1 src1_sel:DWORD
	v_fma_f16 v96, v44, s22, -v95
	v_add_f16_e32 v88, v96, v88
	v_mul_f16_e32 v96, 0xb836, v73
	v_fma_f16 v97, v30, s22, v96
	v_mul_f16_sdwa v159, v77, s21 dst_sel:DWORD dst_unused:UNUSED_PAD src0_sel:WORD_1 src1_sel:DWORD
	v_add_f16_e32 v91, v97, v91
	v_fma_f16 v97, v55, s24, -v159
	v_mul_f16_e32 v160, 0xb1e1, v77
	v_add_f16_e32 v81, v97, v81
	v_fma_f16 v97, v29, s24, v160
	s_movk_i32 s31, 0x3bf7
	v_add_f16_e32 v86, v97, v86
	v_mul_f16_sdwa v97, v77, s31 dst_sel:DWORD dst_unused:UNUSED_PAD src0_sel:WORD_1 src1_sel:DWORD
	v_fma_f16 v98, v55, s16, -v97
	v_add_f16_e32 v88, v98, v88
	v_mul_f16_e32 v98, 0x3bf7, v77
	v_fma_f16 v120, v29, s16, v98
	v_mul_f16_sdwa v161, v26, s31 dst_sel:DWORD dst_unused:UNUSED_PAD src0_sel:WORD_1 src1_sel:DWORD
	v_add_f16_e32 v91, v120, v91
	v_fma_f16 v120, v61, s16, -v161
	v_mul_f16_e32 v162, 0x3bf7, v26
	v_add_f16_e32 v81, v120, v81
	v_fma_f16 v120, v62, s16, v162
	v_add_f16_e32 v86, v120, v86
	v_mul_f16_sdwa v120, v26, s25 dst_sel:DWORD dst_unused:UNUSED_PAD src0_sel:WORD_1 src1_sel:DWORD
	v_fma_f16 v121, v61, s5, -v120
	v_add_f16_e32 v88, v121, v88
	v_mul_f16_e32 v121, 0xb964, v26
	v_fma_f16 v122, v62, s5, v121
	v_mul_f16_sdwa v163, v24, s28 dst_sel:DWORD dst_unused:UNUSED_PAD src0_sel:WORD_1 src1_sel:DWORD
	v_add_f16_e32 v91, v122, v91
	v_fma_f16 v122, v69, s4, -v163
	v_mul_f16_e32 v164, 0xb5c8, v24
	v_add_f16_e32 v81, v122, v81
	v_fma_f16 v122, v70, s4, v164
	v_add_f16_e32 v86, v122, v86
	v_mul_f16_sdwa v122, v24, s21 dst_sel:DWORD dst_unused:UNUSED_PAD src0_sel:WORD_1 src1_sel:DWORD
	v_fma_f16 v123, v69, s24, -v122
	v_add_f16_e32 v88, v123, v88
	v_mul_f16_e32 v123, 0xb1e1, v24
	v_fma_f16 v124, v70, s24, v123
	v_mul_f16_sdwa v165, v74, s17 dst_sel:DWORD dst_unused:UNUSED_PAD src0_sel:WORD_1 src1_sel:DWORD
	v_add_f16_e32 v91, v124, v91
	v_fma_f16 v124, v76, s20, -v165
	v_mul_f16_e32 v166, 0xba62, v74
	v_add_f16_e32 v81, v124, v81
	v_fma_f16 v124, v80, s20, v166
	s_movk_i32 s33, 0x3b29
	v_add_f16_e32 v86, v124, v86
	v_mul_f16_sdwa v124, v74, s33 dst_sel:DWORD dst_unused:UNUSED_PAD src0_sel:WORD_1 src1_sel:DWORD
	v_fma_f16 v125, v76, s12, -v124
	v_add_f16_e32 v88, v125, v88
	v_mul_f16_e32 v125, 0x3b29, v74
	v_fma_f16 v167, v80, s12, v125
	v_add_f16_e32 v91, v167, v91
	v_pack_b32_f16 v88, v88, v91
	v_pack_b32_f16 v81, v81, v86
	v_pk_add_f16 v36, v58, v36
	v_mul_f16_sdwa v58, v46, s19 dst_sel:DWORD dst_unused:UNUSED_PAD src0_sel:WORD_1 src1_sel:DWORD
	ds_write2_b32 v119, v81, v88 offset0:5 offset1:6
	v_fma_f16 v81, v48, s22, -v58
	v_mul_f16_sdwa v86, v56, s33 dst_sel:DWORD dst_unused:UNUSED_PAD src0_sel:WORD_1 src1_sel:DWORD
	v_add_f16_e32 v81, v19, v81
	v_fma_f16 v88, v37, s12, -v86
	v_add_f16_e32 v81, v88, v81
	v_mul_f16_e32 v88, 0xb836, v46
	v_fma_f16 v91, v53, s22, v88
	v_mul_f16_e32 v167, 0x3b29, v56
	v_add_f16_sdwa v91, v19, v91 dst_sel:DWORD dst_unused:UNUSED_PAD src0_sel:WORD_1 src1_sel:DWORD
	v_fma_f16 v168, v34, s12, v167
	v_add_f16_e32 v91, v168, v91
	v_mul_f16_sdwa v168, v65, s26 dst_sel:DWORD dst_unused:UNUSED_PAD src0_sel:WORD_1 src1_sel:DWORD
	v_fma_f16 v169, v41, s16, -v168
	v_add_f16_e32 v81, v169, v81
	v_mul_f16_e32 v169, 0xbbf7, v65
	v_fma_f16 v170, v32, s16, v169
	v_add_f16_e32 v91, v170, v91
	v_mul_f16_sdwa v170, v73, s36 dst_sel:DWORD dst_unused:UNUSED_PAD src0_sel:WORD_1 src1_sel:DWORD
	v_fma_f16 v171, v44, s20, -v170
	v_add_f16_e32 v81, v171, v81
	v_mul_f16_e32 v171, 0x3a62, v73
	;; [unrolled: 6-line block ×6, first 2 shown]
	v_fma_f16 v180, v80, s18, v179
	v_add_f16_e32 v91, v180, v91
	v_pack_b32_f16 v81, v81, v91
	ds_write2_b32 v119, v36, v81 offset1:7
	v_fma_f16 v36, v53, s5, -v54
	v_fma_f16 v54, v53, s16, -v85
	v_fma_f16 v51, v48, s4, v51
	v_fma_f16 v21, v48, s12, v21
	;; [unrolled: 1-line block ×6, first 2 shown]
	v_pk_mul_f16 v48, v48, s24 op_sel_hi:[1,0]
	v_fma_f16 v25, v53, s12, -v25
	v_fma_f16 v81, v53, s18, -v84
	;; [unrolled: 1-line block ×4, first 2 shown]
	v_pk_fma_f16 v87, v46, s21, v48 op_sel:[0,0,1] op_sel_hi:[1,0,0] neg_lo:[1,0,0] neg_hi:[1,0,0]
	v_pk_fma_f16 v46, v46, s21, v48 op_sel:[0,0,1] op_sel_hi:[1,0,0]
	v_add_f16_e32 v180, v19, v51
	v_pk_add_f16 v181, v19, v50 op_sel:[1,0] op_sel_hi:[0,1]
	v_add_f16_sdwa v182, v19, v36 dst_sel:DWORD dst_unused:UNUSED_PAD src0_sel:WORD_1 src1_sel:DWORD
	v_add_f16_e32 v183, v19, v21
	v_add_f16_sdwa v184, v19, v25 dst_sel:DWORD dst_unused:UNUSED_PAD src0_sel:WORD_1 src1_sel:DWORD
	v_add_f16_e32 v185, v19, v82
	;; [unrolled: 2-line block ×5, first 2 shown]
	v_add_f16_sdwa v36, v19, v53 dst_sel:DWORD dst_unused:UNUSED_PAD src0_sel:WORD_1 src1_sel:DWORD
	v_add_f16_sdwa v189, v19, v45 dst_sel:DWORD dst_unused:UNUSED_PAD src0_sel:WORD_1 src1_sel:DWORD
	v_pk_add_f16 v45, v19, v87 op_sel:[1,0] op_sel_hi:[0,1]
	v_pk_add_f16 v19, v19, v46 op_sel:[1,0] op_sel_hi:[0,1]
	v_pk_mul_f16 v46, v37, s4 op_sel_hi:[1,0]
	v_pk_fma_f16 v48, v56, s30, v46 op_sel:[0,0,1] op_sel_hi:[1,0,0] neg_lo:[1,0,0] neg_hi:[1,0,0]
	v_pk_fma_f16 v46, v56, s30, v46 op_sel:[0,0,1] op_sel_hi:[1,0,0]
	v_pk_add_f16 v19, v46, v19
	v_pk_mul_f16 v46, v41, s22 op_sel_hi:[1,0]
	v_pk_add_f16 v45, v48, v45
	v_pk_fma_f16 v48, v65, s19, v46 op_sel:[0,0,1] op_sel_hi:[1,0,0] neg_lo:[1,0,0] neg_hi:[1,0,0]
	v_pk_fma_f16 v46, v65, s19, v46 op_sel:[0,0,1] op_sel_hi:[1,0,0]
	v_pk_add_f16 v19, v46, v19
	v_pk_mul_f16 v46, v44, s5 op_sel_hi:[1,0]
	v_pk_add_f16 v45, v48, v45
	;; [unrolled: 5-line block ×4, first 2 shown]
	v_pk_fma_f16 v48, v26, s33, v46 op_sel:[0,0,1] op_sel_hi:[1,0,0] neg_lo:[1,0,0] neg_hi:[1,0,0]
	v_pk_fma_f16 v26, v26, s33, v46 op_sel:[0,0,1] op_sel_hi:[1,0,0]
	v_pk_add_f16 v19, v26, v19
	v_pk_mul_f16 v26, v69, s18 op_sel_hi:[1,0]
	v_pk_fma_f16 v46, v24, s13, v26 op_sel:[0,0,1] op_sel_hi:[1,0,0] neg_lo:[1,0,0] neg_hi:[1,0,0]
	v_pk_fma_f16 v24, v24, s13, v26 op_sel:[0,0,1] op_sel_hi:[1,0,0]
	v_pk_add_f16 v45, v48, v45
	v_pk_add_f16 v19, v24, v19
	v_pk_mul_f16 v24, v76, s16 op_sel_hi:[1,0]
	v_pk_add_f16 v45, v46, v45
	v_pk_fma_f16 v26, v74, s31, v24 op_sel:[0,0,1] op_sel_hi:[1,0,0] neg_lo:[1,0,0] neg_hi:[1,0,0]
	v_pk_fma_f16 v24, v74, s31, v24 op_sel:[0,0,1] op_sel_hi:[1,0,0]
	v_pk_add_f16 v26, v26, v45
	v_pk_add_f16 v19, v24, v19
	v_alignbit_b32 v24, v26, v19, 16
	v_alignbit_b32 v19, v19, v26, 16
	ds_write2_b32 v119, v19, v24 offset0:8 offset1:9
	v_fma_f16 v19, v37, s18, v89
	v_add_f16_e32 v19, v19, v21
	v_fma_f16 v21, v34, s18, -v92
	v_add_f16_e32 v21, v21, v22
	v_fma_f16 v22, v37, s12, v86
	v_add_f16_e32 v22, v22, v25
	v_fma_f16 v25, v41, s4, v93
	v_add_f16_e32 v19, v25, v19
	v_fma_f16 v25, v32, s4, -v94
	v_fma_f16 v24, v34, s12, -v167
	v_add_f16_e32 v21, v25, v21
	v_fma_f16 v25, v41, s16, v168
	v_add_f16_e32 v24, v24, v36
	v_add_f16_e32 v22, v25, v22
	v_fma_f16 v25, v32, s16, -v169
	v_add_f16_e32 v24, v25, v24
	v_fma_f16 v25, v44, s22, v95
	v_add_f16_e32 v19, v25, v19
	v_fma_f16 v25, v30, s22, -v96
	v_add_f16_e32 v21, v25, v21
	v_fma_f16 v25, v44, s20, v170
	;; [unrolled: 4-line block ×10, first 2 shown]
	v_fma_f16 v38, v37, s5, v38
	v_add_f16_e32 v22, v25, v22
	v_fma_f16 v25, v80, s18, -v179
	v_add_f16_e32 v38, v38, v180
	v_pk_add_f16 v39, v39, v181
	v_fma_f16 v40, v34, s16, -v40
	v_fma_f16 v33, v41, s12, v33
	v_add_f16_e32 v24, v25, v24
	v_add_f16_e32 v40, v40, v182
	v_fma_f16 v118, v37, s20, v118
	v_add_f16_e32 v33, v33, v38
	v_pk_add_f16 v38, v42, v39
	v_fma_f16 v39, v32, s20, -v43
	v_pack_b32_f16 v19, v19, v21
	v_pack_b32_f16 v21, v22, v24
	v_add_f16_e32 v118, v118, v183
	v_fma_f16 v126, v34, s20, -v126
	v_fma_f16 v128, v34, s24, -v128
	;; [unrolled: 1-line block ×3, first 2 shown]
	v_add_f16_e32 v39, v39, v40
	v_fma_f16 v40, v41, s24, v129
	ds_write2_b32 v119, v21, v19 offset0:10 offset1:11
	v_pk_add_f16 v19, v1, v35 neg_lo:[0,1] neg_hi:[0,1]
	v_add_f16_e32 v34, v34, v188
	v_add_f16_e32 v40, v40, v118
	v_fma_f16 v42, v32, s24, -v130
	v_fma_f16 v118, v32, s18, -v132
	;; [unrolled: 1-line block ×3, first 2 shown]
	v_pk_add_f16 v25, v35, v1
	v_mul_f16_sdwa v87, v19, s28 dst_sel:DWORD dst_unused:UNUSED_PAD src0_sel:WORD_1 src1_sel:DWORD
	v_add_f16_e32 v32, v32, v34
	v_fma_f16 v34, v44, s16, v47
	v_fma_f16 v21, v25, s4, v87
	v_add_f16_e32 v33, v34, v33
	v_pk_add_f16 v34, v49, v38
	v_fma_f16 v38, v30, s24, -v52
	v_add_f16_e32 v22, v21, v0
	v_pk_add_f16 v21, v11, v14 op_sel:[1,0] op_sel_hi:[0,1]
	v_pk_add_f16 v26, v14, v11 op_sel:[1,0] op_sel_hi:[0,1] neg_lo:[0,1] neg_hi:[0,1]
	v_add_f16_e32 v126, v126, v184
	v_add_f16_e32 v38, v38, v39
	v_fma_f16 v39, v44, s18, v133
	v_lshrrev_b32_e32 v65, 16, v21
	v_mul_f16_sdwa v88, v26, s25 dst_sel:DWORD dst_unused:UNUSED_PAD src0_sel:WORD_1 src1_sel:DWORD
	v_add_f16_e32 v42, v42, v126
	v_add_f16_e32 v39, v39, v40
	v_fma_f16 v40, v30, s18, -v134
	v_fma_f16 v24, v65, s5, v88
	v_lshrrev_b32_e32 v73, 16, v25
	v_mul_f16_e32 v91, 0xb5c8, v19
	v_add_f16_e32 v40, v40, v42
	v_fma_f16 v42, v30, s4, -v136
	v_fma_f16 v30, v30, s12, -v158
	v_add_f16_e32 v24, v24, v22
	v_fma_f16 v22, v73, s4, -v91
	v_mul_f16_e32 v92, 0xb964, v26
	v_add_f16_e32 v30, v30, v32
	v_fma_f16 v32, v55, s18, v57
	v_add_f16_sdwa v22, v22, v0 dst_sel:DWORD dst_unused:UNUSED_PAD src0_sel:DWORD src1_sel:WORD_1
	v_fma_f16 v36, v21, s5, -v92
	v_fma_f16 v127, v37, s24, v127
	v_fma_f16 v37, v37, s22, v153
	v_add_f16_e32 v32, v32, v33
	v_pk_add_f16 v33, v59, v34
	v_fma_f16 v34, v29, s22, -v60
	v_add_f16_e32 v36, v36, v22
	v_pk_add_f16 v22, v15, v10 neg_lo:[0,1] neg_hi:[0,1]
	v_add_f16_e32 v127, v127, v185
	v_add_f16_e32 v37, v37, v187
	v_fma_f16 v43, v41, s18, v131
	v_fma_f16 v41, v41, s5, v155
	v_add_f16_e32 v34, v34, v38
	v_fma_f16 v38, v55, s5, v137
	v_pk_add_f16 v45, v10, v15
	v_mul_f16_sdwa v89, v22, s27 dst_sel:DWORD dst_unused:UNUSED_PAD src0_sel:WORD_1 src1_sel:DWORD
	v_add_f16_e32 v43, v43, v127
	v_add_f16_e32 v37, v41, v37
	v_fma_f16 v41, v44, s4, v135
	v_add_f16_e32 v38, v38, v39
	v_fma_f16 v39, v29, s5, -v138
	v_fma_f16 v46, v45, s12, v89
	v_lshrrev_b32_e32 v77, 16, v45
	v_mul_f16_e32 v94, 0xbb29, v22
	v_add_f16_e32 v41, v41, v43
	v_add_f16_e32 v39, v39, v40
	v_fma_f16 v40, v55, s12, v139
	v_add_f16_e32 v46, v46, v24
	v_fma_f16 v24, v77, s12, -v94
	v_add_f16_e32 v40, v40, v41
	v_fma_f16 v41, v29, s12, -v140
	v_fma_f16 v29, v29, s24, -v160
	v_add_f16_e32 v36, v24, v36
	v_pk_add_f16 v24, v12, v9 neg_lo:[0,1] neg_hi:[0,1]
	v_add_f16_e32 v29, v29, v30
	v_fma_f16 v30, v61, s20, v63
	v_pk_add_f16 v48, v9, v12
	v_mul_f16_sdwa v90, v24, s26 dst_sel:DWORD dst_unused:UNUSED_PAD src0_sel:WORD_1 src1_sel:DWORD
	v_add_f16_e32 v30, v30, v32
	v_pk_add_f16 v32, v64, v33
	v_fma_f16 v33, v62, s18, -v66
	v_fma_f16 v50, v48, s16, v90
	v_lshrrev_b32_e32 v81, 16, v48
	v_mul_f16_e32 v96, 0xbbf7, v24
	v_add_f16_e32 v128, v128, v186
	v_add_f16_e32 v33, v33, v34
	v_fma_f16 v34, v61, s4, v141
	v_add_f16_e32 v46, v50, v46
	v_fma_f16 v50, v81, s16, -v96
	v_add_f16_e32 v118, v118, v128
	v_add_f16_e32 v34, v34, v38
	v_fma_f16 v38, v62, s4, -v142
	v_add_f16_e32 v50, v50, v36
	v_pk_add_f16 v36, v13, v8 neg_lo:[0,1] neg_hi:[0,1]
	v_add_f16_e32 v42, v42, v118
	v_fma_f16 v43, v44, s12, v157
	v_add_f16_e32 v38, v38, v39
	v_fma_f16 v39, v61, s22, v143
	v_pk_add_f16 v51, v8, v13
	v_mul_f16_sdwa v93, v36, s13 dst_sel:DWORD dst_unused:UNUSED_PAD src0_sel:WORD_1 src1_sel:DWORD
	v_add_f16_e32 v37, v43, v37
	v_add_f16_e32 v41, v41, v42
	v_fma_f16 v42, v55, s24, v159
	v_add_f16_e32 v39, v39, v40
	v_fma_f16 v40, v62, s22, -v144
	v_fma_f16 v53, v51, s18, v93
	v_lshrrev_b32_e32 v82, 16, v51
	v_mul_f16_e32 v98, 0xbbb2, v36
	v_add_f16_e32 v37, v42, v37
	v_add_f16_e32 v40, v40, v41
	v_fma_f16 v41, v61, s16, v161
	v_add_f16_e32 v53, v53, v46
	v_fma_f16 v46, v82, s18, -v98
	v_add_f16_e32 v37, v41, v37
	v_fma_f16 v41, v62, s16, -v162
	v_add_f16_e32 v50, v46, v50
	v_pk_add_f16 v46, v2, v7 neg_lo:[0,1] neg_hi:[0,1]
	v_add_f16_e32 v29, v41, v29
	v_fma_f16 v41, v69, s22, v71
	v_pk_add_f16 v54, v7, v2
	v_mul_f16_sdwa v95, v46, s17 dst_sel:DWORD dst_unused:UNUSED_PAD src0_sel:WORD_1 src1_sel:DWORD
	v_add_f16_e32 v30, v41, v30
	v_fma_f16 v41, v70, s12, -v72
	v_add_f16_e32 v20, v20, v189
	v_fma_f16 v56, v54, s20, v95
	v_lshrrev_b32_e32 v84, 16, v54
	v_mul_f16_e32 v123, 0xba62, v46
	v_add_f16_e32 v33, v41, v33
	v_fma_f16 v41, v69, s16, v145
	v_add_f16_e32 v20, v31, v20
	v_add_f16_e32 v53, v56, v53
	v_fma_f16 v56, v84, s20, -v123
	v_add_f16_e32 v34, v41, v34
	v_fma_f16 v41, v69, s20, v147
	v_add_f16_e32 v20, v27, v20
	v_add_f16_e32 v58, v56, v50
	v_pk_add_f16 v50, v3, v6 neg_lo:[0,1] neg_hi:[0,1]
	v_add_f16_e32 v39, v41, v39
	v_fma_f16 v41, v70, s20, -v148
	v_add_f16_e32 v20, v28, v20
	v_pk_add_f16 v56, v6, v3
	v_mul_f16_sdwa v97, v50, s19 dst_sel:DWORD dst_unused:UNUSED_PAD src0_sel:WORD_1 src1_sel:DWORD
	v_add_f16_e32 v40, v41, v40
	v_fma_f16 v41, v69, s4, v163
	v_fma_f16 v42, v70, s4, -v164
	v_add_f16_e32 v20, v23, v20
	v_fma_f16 v23, v80, s4, -v83
	v_fma_f16 v27, v76, s22, v149
	v_fma_f16 v85, v56, s22, v97
	v_add_f16_e32 v37, v41, v37
	v_add_f16_e32 v29, v42, v29
	;; [unrolled: 1-line block ×4, first 2 shown]
	v_fma_f16 v28, v76, s5, v151
	v_fma_f16 v31, v80, s5, -v152
	v_fma_f16 v33, v76, s20, v165
	v_fma_f16 v34, v80, s20, -v166
	v_add_f16_e32 v86, v85, v53
	v_lshrrev_b32_e32 v85, 16, v56
	v_mul_f16_e32 v124, 0xb836, v50
	v_add_f16_e32 v28, v28, v39
	v_add_f16_e32 v31, v31, v40
	;; [unrolled: 1-line block ×4, first 2 shown]
	v_fma_f16 v53, v85, s22, -v124
	v_fma_f16 v41, v70, s16, -v146
	v_pk_mul_f16 v37, v74, s37
	v_pack_b32_f16 v28, v28, v31
	v_pack_b32_f16 v29, v33, v29
	v_add_f16_e32 v120, v53, v58
	v_pk_add_f16 v53, v4, v5 neg_lo:[0,1] neg_hi:[0,1]
	v_mul_f16_e32 v39, 0xb836, v74
	ds_write2_b32 v119, v29, v28 offset0:12 offset1:13
	v_pack_b32_f16 v28, v41, v75
	v_bfi_b32 v29, s23, v38, v37
	v_pk_add_f16 v58, v5, v4
	v_mul_f16_sdwa v122, v53, s21 dst_sel:DWORD dst_unused:UNUSED_PAD src0_sel:WORD_1 src1_sel:DWORD
	v_pk_add_f16 v28, v28, v29
	v_bfi_b32 v29, s23, v39, v32
	v_fma_f16 v121, v58, s24, v122
	v_pk_add_f16 v29, v150, v29 neg_lo:[0,1] neg_hi:[0,1]
	v_pk_add_f16 v31, v67, v32
	v_add_f16_e32 v18, v121, v86
	v_lshrrev_b32_e32 v86, 16, v58
	v_mul_f16_e32 v125, 0xb1e1, v53
	v_fma_f16 v42, v76, s24, v78
	v_add_f16_e32 v20, v68, v20
	v_bfi_b32 v29, s23, v29, v31
	v_fma_f16 v167, v86, s24, -v125
	v_add_f16_e32 v30, v42, v30
	v_add_f16_e32 v20, v79, v20
	v_pk_add_f16 v28, v29, v28
	v_add_f16_e32 v120, v167, v120
	v_add_co_u32_e64 v118, s[0:1], 51, v100
	v_alignbit_b32 v23, v23, v28, 16
	v_pack_b32_f16 v27, v27, v28
	v_pack_b32_f16 v20, v30, v20
	ds_write2_b32 v119, v27, v23 offset0:14 offset1:15
	ds_write_b32 v119, v20 offset:64
	s_and_saveexec_b64 s[0:1], vcc
	s_cbranch_execz .LBB0_7
; %bb.6:
	v_mul_f16_e32 v49, 0xbacd, v73
	v_alignbit_b32 v29, v14, v14, 16
	v_fma_f16 v14, v19, s35, v49
	v_mul_f16_e32 v52, 0x3722, v21
	v_add_f16_sdwa v14, v14, v0 dst_sel:DWORD dst_unused:UNUSED_PAD src0_sel:DWORD src1_sel:WORD_1
	v_fma_f16 v23, v26, s27, v52
	v_mul_f16_e32 v55, 0x2de8, v77
	v_add_f16_e32 v14, v23, v14
	v_fma_f16 v23, v22, s31, v55
	v_mul_f16_e32 v57, 0xb8d2, v81
	v_add_f16_e32 v14, v23, v14
	;; [unrolled: 3-line block ×5, first 2 shown]
	v_fma_f16 v23, v50, s25, v61
	v_mul_f16_e32 v62, 0xb461, v86
	v_fma_f16 v49, v19, s19, v49
	v_add_f16_e32 v14, v23, v14
	v_fma_f16 v23, v53, s34, v62
	v_mul_f16_sdwa v63, v19, s19 dst_sel:DWORD dst_unused:UNUSED_PAD src0_sel:WORD_1 src1_sel:DWORD
	v_add_f16_sdwa v49, v49, v0 dst_sel:DWORD dst_unused:UNUSED_PAD src0_sel:DWORD src1_sel:WORD_1
	v_fma_f16 v52, v26, s33, v52
	v_add_f16_e32 v14, v23, v14
	v_fma_f16 v23, v25, s22, v63
	v_mul_f16_sdwa v64, v26, s33 dst_sel:DWORD dst_unused:UNUSED_PAD src0_sel:WORD_1 src1_sel:DWORD
	v_add_f16_e32 v49, v52, v49
	v_fma_f16 v52, v22, s26, v55
	v_add_f16_e32 v23, v23, v0
	v_fma_f16 v66, v65, s12, v64
	v_add_f16_e32 v49, v52, v49
	v_fma_f16 v52, v24, s36, v57
	v_add_f16_e32 v23, v66, v23
	v_mul_f16_sdwa v66, v22, s26 dst_sel:DWORD dst_unused:UNUSED_PAD src0_sel:WORD_1 src1_sel:DWORD
	v_add_f16_e32 v49, v52, v49
	v_fma_f16 v52, v36, s28, v59
	v_fma_f16 v67, v45, s16, v66
	v_add_f16_e32 v49, v52, v49
	v_fma_f16 v52, v46, s21, v60
	v_add_f16_e32 v23, v67, v23
	v_mul_f16_sdwa v67, v24, s36 dst_sel:DWORD dst_unused:UNUSED_PAD src0_sel:WORD_1 src1_sel:DWORD
	v_add_f16_e32 v49, v52, v49
	v_fma_f16 v52, v50, s29, v61
	v_fma_f16 v68, v48, s20, v67
	v_add_f16_e32 v49, v52, v49
	v_fma_f16 v52, v53, s13, v62
	v_add_f16_e32 v23, v68, v23
	v_mul_f16_sdwa v68, v36, s28 dst_sel:DWORD dst_unused:UNUSED_PAD src0_sel:WORD_1 src1_sel:DWORD
	v_add_f16_e32 v49, v52, v49
	v_fma_f16 v52, v25, s22, -v63
	v_fma_f16 v69, v51, s4, v68
	v_add_f16_e32 v52, v52, v0
	v_fma_f16 v55, v65, s12, -v64
	v_add_f16_e32 v23, v69, v23
	v_mul_f16_sdwa v69, v46, s21 dst_sel:DWORD dst_unused:UNUSED_PAD src0_sel:WORD_1 src1_sel:DWORD
	v_add_f16_e32 v52, v55, v52
	v_fma_f16 v55, v45, s16, -v66
	v_fma_f16 v70, v54, s24, v69
	v_add_f16_e32 v52, v55, v52
	v_fma_f16 v55, v48, s20, -v67
	;; [unrolled: 7-line block ×3, first 2 shown]
	v_add_f16_e32 v23, v71, v23
	v_mul_f16_sdwa v71, v53, s13 dst_sel:DWORD dst_unused:UNUSED_PAD src0_sel:WORD_1 src1_sel:DWORD
	v_add_f16_e32 v52, v55, v52
	v_fma_f16 v55, v56, s5, -v70
	v_add_f16_e32 v52, v55, v52
	v_fma_f16 v55, v58, s18, -v71
	v_add_f16_e32 v52, v55, v52
	v_mul_f16_e32 v55, 0xba62, v19
	v_fma_f16 v57, v73, s20, v55
	v_mul_f16_e32 v59, 0x3bb2, v26
	v_add_f16_sdwa v57, v57, v0 dst_sel:DWORD dst_unused:UNUSED_PAD src0_sel:DWORD src1_sel:WORD_1
	v_fma_f16 v60, v21, s18, v59
	v_add_f16_e32 v57, v60, v57
	v_mul_f16_e32 v60, 0xb5c8, v22
	v_fma_f16 v61, v77, s4, v60
	v_add_f16_e32 v57, v61, v57
	v_mul_f16_e32 v61, 0xb836, v24
	;; [unrolled: 3-line block ×6, first 2 shown]
	v_fma_f16 v67, v86, s12, v66
	v_add_f16_e32 v57, v67, v57
	v_mul_f16_sdwa v67, v19, s17 dst_sel:DWORD dst_unused:UNUSED_PAD src0_sel:WORD_1 src1_sel:DWORD
	v_fma_f16 v68, v25, s20, -v67
	v_mul_f16_sdwa v69, v26, s34 dst_sel:DWORD dst_unused:UNUSED_PAD src0_sel:WORD_1 src1_sel:DWORD
	v_add_f16_e32 v68, v68, v0
	v_fma_f16 v70, v65, s18, -v69
	v_add_f16_e32 v68, v70, v68
	v_mul_f16_sdwa v70, v22, s28 dst_sel:DWORD dst_unused:UNUSED_PAD src0_sel:WORD_1 src1_sel:DWORD
	v_fma_f16 v72, v58, s18, v71
	v_fma_f16 v71, v45, s4, -v70
	v_add_f16_e32 v68, v71, v68
	v_mul_f16_sdwa v71, v24, s19 dst_sel:DWORD dst_unused:UNUSED_PAD src0_sel:WORD_1 src1_sel:DWORD
	v_add_f16_e32 v23, v72, v23
	v_fma_f16 v72, v48, s22, -v71
	v_add_f16_e32 v68, v72, v68
	v_mul_f16_sdwa v72, v36, s31 dst_sel:DWORD dst_unused:UNUSED_PAD src0_sel:WORD_1 src1_sel:DWORD
	v_fma_f16 v74, v51, s16, -v72
	v_add_f16_e32 v68, v74, v68
	v_mul_f16_sdwa v74, v46, s25 dst_sel:DWORD dst_unused:UNUSED_PAD src0_sel:WORD_1 src1_sel:DWORD
	;; [unrolled: 3-line block ×4, first 2 shown]
	v_fma_f16 v78, v58, s12, -v76
	v_add_f16_e32 v68, v78, v68
	v_mul_f16_e32 v78, 0xbbb2, v19
	v_fma_f16 v79, v73, s18, v78
	v_mul_f16_e32 v80, 0x3836, v26
	v_add_f16_sdwa v79, v79, v0 dst_sel:DWORD dst_unused:UNUSED_PAD src0_sel:DWORD src1_sel:WORD_1
	v_fma_f16 v83, v21, s22, v80
	v_add_f16_e32 v79, v83, v79
	v_mul_f16_e32 v83, 0x3964, v22
	v_fma_f16 v126, v77, s5, v83
	v_add_f16_e32 v79, v126, v79
	v_mul_f16_e32 v126, 0xbb29, v24
	;; [unrolled: 3-line block ×6, first 2 shown]
	v_fma_f16 v131, v86, s20, v130
	v_add_f16_e32 v79, v131, v79
	v_mul_f16_sdwa v131, v19, s13 dst_sel:DWORD dst_unused:UNUSED_PAD src0_sel:WORD_1 src1_sel:DWORD
	v_fma_f16 v132, v25, s18, -v131
	v_mul_f16_sdwa v133, v26, s35 dst_sel:DWORD dst_unused:UNUSED_PAD src0_sel:WORD_1 src1_sel:DWORD
	v_add_f16_e32 v132, v132, v0
	v_fma_f16 v134, v65, s22, -v133
	v_add_f16_e32 v132, v134, v132
	v_mul_f16_sdwa v134, v22, s29 dst_sel:DWORD dst_unused:UNUSED_PAD src0_sel:WORD_1 src1_sel:DWORD
	v_fma_f16 v135, v45, s5, -v134
	v_add_f16_e32 v132, v135, v132
	v_mul_f16_sdwa v135, v24, s27 dst_sel:DWORD dst_unused:UNUSED_PAD src0_sel:WORD_1 src1_sel:DWORD
	;; [unrolled: 3-line block ×6, first 2 shown]
	v_fma_f16 v140, v58, s20, -v139
	v_alignbit_b32 v20, v0, v0, 16
	v_add_f16_e32 v132, v140, v132
	v_mul_f16_e32 v140, 0xbbf7, v19
	v_fma_f16 v141, v73, s16, v140
	v_mul_f16_e32 v142, 0xb1e1, v26
	v_pk_add_f16 v1, v1, v20 op_sel:[0,1] op_sel_hi:[1,0]
	v_add_f16_sdwa v141, v141, v0 dst_sel:DWORD dst_unused:UNUSED_PAD src0_sel:DWORD src1_sel:WORD_1
	v_fma_f16 v143, v21, s24, v142
	v_pk_add_f16 v1, v29, v1
	v_add_f16_e32 v141, v143, v141
	v_mul_f16_e32 v143, 0x3bb2, v22
	v_pk_add_f16 v1, v15, v1
	v_fma_f16 v144, v77, s18, v143
	v_pk_add_f16 v1, v12, v1
	v_fma_f16 v12, v73, s20, -v55
	v_add_f16_e32 v141, v144, v141
	v_mul_f16_e32 v144, 0x35c8, v24
	v_pk_add_f16 v1, v13, v1
	v_add_f16_sdwa v12, v12, v0 dst_sel:DWORD dst_unused:UNUSED_PAD src0_sel:DWORD src1_sel:WORD_1
	v_fma_f16 v13, v21, s18, -v59
	v_fma_f16 v145, v81, s4, v144
	v_add_f16_e32 v12, v13, v12
	v_fma_f16 v13, v77, s4, -v60
	v_add_f16_e32 v141, v145, v141
	v_mul_f16_e32 v145, 0xbb29, v36
	v_add_f16_e32 v12, v13, v12
	v_fma_f16 v13, v81, s22, -v61
	v_fma_f16 v146, v82, s12, v145
	v_add_f16_e32 v12, v13, v12
	v_fma_f16 v13, v82, s16, -v62
	v_add_f16_e32 v141, v146, v141
	v_mul_f16_e32 v146, 0xb836, v46
	v_add_f16_e32 v12, v13, v12
	v_fma_f16 v13, v84, s5, -v63
	v_fma_f16 v147, v84, s22, v146
	v_add_f16_e32 v12, v13, v12
	v_fma_f16 v13, v85, s24, -v64
	v_add_f16_e32 v141, v147, v141
	v_mul_f16_e32 v147, 0x3a62, v50
	v_add_f16_e32 v12, v13, v12
	v_fma_f16 v13, v86, s12, -v66
	v_fma_f16 v148, v85, s20, v147
	v_mul_f16_e32 v149, 0x39e9, v86
	v_add_f16_e32 v12, v13, v12
	v_fma_f16 v13, v25, s20, v67
	v_add_f16_e32 v141, v148, v141
	v_fma_f16 v150, v53, s29, v149
	;; [unrolled: 2-line block ×3, first 2 shown]
	v_add_f16_e32 v141, v150, v141
	v_mul_f16_sdwa v150, v19, s26 dst_sel:DWORD dst_unused:UNUSED_PAD src0_sel:WORD_1 src1_sel:DWORD
	v_add_f16_e32 v13, v15, v13
	v_fma_f16 v15, v45, s4, v70
	v_fma_f16 v151, v25, s16, -v150
	v_mul_f16_sdwa v152, v26, s21 dst_sel:DWORD dst_unused:UNUSED_PAD src0_sel:WORD_1 src1_sel:DWORD
	v_add_f16_e32 v13, v15, v13
	v_fma_f16 v15, v48, s22, v71
	v_add_f16_e32 v151, v151, v0
	v_fma_f16 v153, v65, s24, -v152
	v_add_f16_e32 v13, v15, v13
	v_fma_f16 v15, v51, s16, v72
	v_add_f16_e32 v151, v153, v151
	v_mul_f16_sdwa v153, v22, s34 dst_sel:DWORD dst_unused:UNUSED_PAD src0_sel:WORD_1 src1_sel:DWORD
	v_add_f16_e32 v13, v15, v13
	v_fma_f16 v15, v54, s5, v74
	v_fma_f16 v154, v45, s18, -v153
	v_add_f16_e32 v13, v15, v13
	v_fma_f16 v15, v56, s24, v75
	v_add_f16_e32 v151, v154, v151
	v_mul_f16_sdwa v154, v24, s30 dst_sel:DWORD dst_unused:UNUSED_PAD src0_sel:WORD_1 src1_sel:DWORD
	v_add_f16_e32 v13, v15, v13
	v_fma_f16 v15, v58, s12, v76
	v_mul_f16_e32 v27, 0x3b76, v25
	v_fma_f16 v155, v48, s4, -v154
	v_add_f16_e32 v13, v15, v13
	v_fma_f16 v15, v73, s18, -v78
	v_mul_f16_e32 v30, 0x39e9, v65
	v_add_f16_e32 v151, v155, v151
	v_mul_f16_sdwa v155, v36, s27 dst_sel:DWORD dst_unused:UNUSED_PAD src0_sel:WORD_1 src1_sel:DWORD
	v_sub_f16_e32 v27, v27, v87
	v_add_f16_sdwa v15, v15, v0 dst_sel:DWORD dst_unused:UNUSED_PAD src0_sel:DWORD src1_sel:WORD_1
	v_fma_f16 v29, v21, s22, -v80
	v_mul_f16_e32 v32, 0x3722, v45
	v_fma_f16 v156, v51, s12, -v155
	v_add_f16_e32 v27, v27, v0
	v_sub_f16_e32 v30, v30, v88
	v_add_f16_e32 v15, v29, v15
	v_fma_f16 v29, v77, s5, -v83
	v_mul_f16_e32 v34, 0x2de8, v48
	v_add_f16_e32 v151, v156, v151
	v_mul_f16_sdwa v156, v46, s19 dst_sel:DWORD dst_unused:UNUSED_PAD src0_sel:WORD_1 src1_sel:DWORD
	v_add_f16_e32 v27, v30, v27
	v_sub_f16_e32 v30, v32, v89
	v_add_f16_e32 v15, v29, v15
	v_fma_f16 v29, v81, s12, -v126
	v_mul_f16_e32 v38, 0xb461, v51
	v_fma_f16 v157, v54, s22, -v156
	v_add_f16_e32 v27, v30, v27
	v_sub_f16_e32 v30, v34, v90
	v_add_f16_e32 v15, v29, v15
	v_fma_f16 v29, v82, s24, -v127
	v_mul_f16_e32 v40, 0xb8d2, v54
	v_add_f16_e32 v151, v157, v151
	v_mul_f16_sdwa v157, v50, s36 dst_sel:DWORD dst_unused:UNUSED_PAD src0_sel:WORD_1 src1_sel:DWORD
	v_add_f16_e32 v27, v30, v27
	v_sub_f16_e32 v30, v38, v93
	v_add_f16_e32 v15, v29, v15
	v_fma_f16 v29, v84, s16, -v128
	v_mul_f16_e32 v28, 0x3b76, v73
	v_mul_f16_e32 v42, 0xbacd, v56
	v_fma_f16 v158, v56, s20, -v157
	v_add_f16_e32 v27, v30, v27
	v_sub_f16_e32 v30, v40, v95
	v_add_f16_e32 v15, v29, v15
	v_fma_f16 v29, v85, s4, -v129
	v_mul_f16_e32 v31, 0x39e9, v21
	v_mul_f16_e32 v44, 0xbbdd, v58
	v_add_f16_e32 v151, v158, v151
	v_mul_f16_sdwa v158, v53, s29 dst_sel:DWORD dst_unused:UNUSED_PAD src0_sel:WORD_1 src1_sel:DWORD
	v_add_f16_e32 v28, v91, v28
	v_add_f16_e32 v27, v30, v27
	v_sub_f16_e32 v30, v42, v97
	v_add_f16_e32 v15, v29, v15
	v_fma_f16 v29, v86, s20, -v130
	v_mul_f16_e32 v33, 0x3722, v77
	v_fma_f16 v159, v58, s5, -v158
	v_add_f16_sdwa v28, v28, v0 dst_sel:DWORD dst_unused:UNUSED_PAD src0_sel:DWORD src1_sel:WORD_1
	v_add_f16_e32 v31, v92, v31
	v_add_f16_e32 v27, v30, v27
	v_sub_f16_e32 v30, v44, v122
	v_add_f16_e32 v15, v29, v15
	v_fma_f16 v29, v25, s18, v131
	v_fma_f16 v32, v25, s16, v150
	v_add_f16_e32 v151, v159, v151
	v_mul_f16_e32 v159, 0xbb29, v19
	v_mul_f16_sdwa v177, v19, s25 dst_sel:DWORD dst_unused:UNUSED_PAD src0_sel:WORD_1 src1_sel:DWORD
	v_add_f16_e32 v28, v31, v28
	v_add_f16_e32 v31, v94, v33
	;; [unrolled: 1-line block ×4, first 2 shown]
	v_fma_f16 v30, v65, s22, v133
	v_add_f16_e32 v32, v32, v0
	v_fma_f16 v33, v65, s24, v152
	v_fma_f16 v160, v73, s12, v159
	v_mul_f16_e32 v161, 0xba62, v26
	v_fma_f16 v178, v25, s5, -v177
	v_mul_f16_sdwa v179, v26, s26 dst_sel:DWORD dst_unused:UNUSED_PAD src0_sel:WORD_1 src1_sel:DWORD
	v_add_f16_e32 v29, v30, v29
	v_fma_f16 v30, v45, s5, v134
	v_add_f16_e32 v32, v33, v32
	v_fma_f16 v33, v45, s18, v153
	v_add_f16_sdwa v160, v160, v0 dst_sel:DWORD dst_unused:UNUSED_PAD src0_sel:DWORD src1_sel:WORD_1
	v_fma_f16 v162, v21, s20, v161
	v_add_f16_e32 v178, v178, v0
	v_fma_f16 v180, v65, s16, -v179
	v_add_f16_e32 v29, v30, v29
	v_fma_f16 v30, v48, s12, v135
	v_add_f16_e32 v32, v33, v32
	v_fma_f16 v33, v48, s4, v154
	v_add_f16_e32 v160, v162, v160
	v_mul_f16_e32 v162, 0x31e1, v22
	v_add_f16_e32 v178, v180, v178
	v_mul_f16_sdwa v180, v22, s17 dst_sel:DWORD dst_unused:UNUSED_PAD src0_sel:WORD_1 src1_sel:DWORD
	v_add_f16_e32 v29, v30, v29
	v_fma_f16 v30, v51, s24, v136
	v_add_f16_e32 v32, v33, v32
	v_fma_f16 v33, v51, s12, v155
	v_fma_f16 v163, v77, s24, v162
	v_fma_f16 v181, v45, s20, -v180
	v_add_f16_e32 v29, v30, v29
	v_fma_f16 v30, v54, s16, v137
	v_add_f16_e32 v32, v33, v32
	v_fma_f16 v33, v54, s22, v156
	v_add_f16_e32 v160, v163, v160
	v_mul_f16_e32 v163, 0x3bb2, v24
	v_add_f16_e32 v178, v181, v178
	v_mul_f16_sdwa v181, v24, s21 dst_sel:DWORD dst_unused:UNUSED_PAD src0_sel:WORD_1 src1_sel:DWORD
	v_add_f16_e32 v29, v30, v29
	v_fma_f16 v30, v56, s4, v138
	v_add_f16_e32 v32, v33, v32
	v_fma_f16 v33, v56, s20, v157
	v_fma_f16 v164, v81, s18, v163
	v_fma_f16 v182, v48, s24, -v181
	v_add_f16_e32 v29, v30, v29
	v_fma_f16 v30, v58, s20, v139
	v_add_f16_e32 v32, v33, v32
	v_fma_f16 v33, v58, s5, v158
	v_pk_add_f16 v1, v2, v1
	v_add_f16_e32 v160, v164, v160
	v_mul_f16_e32 v164, 0x3964, v36
	v_add_f16_e32 v178, v182, v178
	v_mul_f16_sdwa v182, v36, s35 dst_sel:DWORD dst_unused:UNUSED_PAD src0_sel:WORD_1 src1_sel:DWORD
	v_add_f16_e32 v29, v30, v29
	v_fma_f16 v30, v73, s16, -v140
	v_add_f16_e32 v32, v33, v32
	v_fma_f16 v33, v73, s12, -v159
	v_fma_f16 v66, v25, s5, v177
	v_pk_add_f16 v1, v3, v1
	v_fma_f16 v165, v82, s5, v164
	v_fma_f16 v183, v51, s22, -v182
	v_add_f16_sdwa v30, v30, v0 dst_sel:DWORD dst_unused:UNUSED_PAD src0_sel:DWORD src1_sel:WORD_1
	v_add_f16_sdwa v33, v33, v0 dst_sel:DWORD dst_unused:UNUSED_PAD src0_sel:DWORD src1_sel:WORD_1
	v_add_f16_e32 v0, v66, v0
	v_fma_f16 v65, v65, s16, v179
	v_pk_add_f16 v1, v4, v1
	v_mul_f16_e32 v37, 0x2de8, v81
	v_add_f16_e32 v160, v165, v160
	v_mul_f16_e32 v165, 0xb5c8, v46
	v_add_f16_e32 v178, v183, v178
	v_mul_f16_sdwa v183, v46, s34 dst_sel:DWORD dst_unused:UNUSED_PAD src0_sel:WORD_1 src1_sel:DWORD
	v_fma_f16 v34, v21, s20, -v161
	v_add_f16_e32 v0, v65, v0
	v_fma_f16 v65, v45, s20, v180
	v_pk_add_f16 v1, v5, v1
	v_mul_f16_e32 v39, 0xb461, v82
	v_fma_f16 v166, v84, s4, v165
	v_fma_f16 v184, v54, s18, -v183
	v_add_f16_e32 v28, v31, v28
	v_add_f16_e32 v31, v96, v37
	;; [unrolled: 1-line block ×3, first 2 shown]
	v_fma_f16 v34, v77, s24, -v162
	v_add_f16_e32 v0, v65, v0
	v_fma_f16 v65, v48, s24, v181
	v_pk_add_f16 v1, v6, v1
	v_mul_f16_e32 v41, 0xb8d2, v84
	v_add_f16_e32 v160, v166, v160
	v_mul_f16_e32 v166, 0xbbf7, v50
	v_add_f16_e32 v178, v184, v178
	v_mul_f16_sdwa v184, v50, s33 dst_sel:DWORD dst_unused:UNUSED_PAD src0_sel:WORD_1 src1_sel:DWORD
	v_add_f16_e32 v28, v31, v28
	v_add_f16_e32 v31, v98, v39
	v_add_f16_e32 v33, v34, v33
	v_fma_f16 v34, v81, s18, -v163
	v_add_f16_e32 v0, v65, v0
	v_fma_f16 v65, v51, s22, v182
	v_pk_add_f16 v1, v7, v1
	v_mul_f16_e32 v43, 0xbacd, v85
	v_fma_f16 v167, v85, s16, v166
	v_fma_f16 v185, v56, s12, -v184
	v_add_f16_e32 v28, v31, v28
	v_add_f16_e32 v31, v123, v41
	;; [unrolled: 1-line block ×3, first 2 shown]
	v_fma_f16 v34, v82, s5, -v164
	v_add_f16_e32 v0, v65, v0
	v_fma_f16 v65, v54, s18, v183
	v_pk_add_f16 v1, v8, v1
	v_mul_f16_e32 v47, 0xbbdd, v86
	v_add_f16_e32 v160, v167, v160
	v_mul_f16_e32 v167, 0xb836, v53
	v_add_f16_e32 v178, v185, v178
	v_mul_f16_sdwa v185, v53, s30 dst_sel:DWORD dst_unused:UNUSED_PAD src0_sel:WORD_1 src1_sel:DWORD
	v_add_f16_e32 v28, v31, v28
	v_add_f16_e32 v31, v124, v43
	;; [unrolled: 1-line block ×3, first 2 shown]
	v_fma_f16 v34, v84, s4, -v165
	v_add_f16_e32 v0, v65, v0
	v_fma_f16 v65, v56, s12, v184
	v_pk_add_f16 v1, v9, v1
	v_fma_f16 v168, v86, s22, v167
	s_mov_b32 s27, 0x39e93722
	v_add_f16_e32 v28, v31, v28
	v_add_f16_e32 v31, v125, v47
	;; [unrolled: 1-line block ×3, first 2 shown]
	v_fma_f16 v34, v85, s16, -v166
	v_add_f16_e32 v0, v65, v0
	v_fma_f16 v65, v58, s4, v185
	v_pk_add_f16 v1, v10, v1
	v_add_f16_e32 v160, v168, v160
	v_pk_mul_f16 v168, v25, s27
	s_mov_b32 s28, 0xbb29b964
	s_mov_b32 s27, 0xba62bbf7
	v_add_f16_e32 v28, v31, v28
	v_add_f16_e32 v33, v34, v33
	v_fma_f16 v34, v86, s22, -v167
	v_add_f16_e32 v0, v65, v0
	v_mul_u32_u24_e32 v65, 17, v118
	v_pk_add_f16 v1, v11, v1
	s_mov_b32 s36, 0xb8d22de8
	v_pk_mul_f16 v169, v26, s27
	s_mov_b32 s27, 0xb8d2bbdd
	v_add_f16_e32 v33, v34, v33
	v_pk_fma_f16 v34, v19, s28, v168 op_sel:[0,0,1] op_sel_hi:[1,1,0]
	v_pk_fma_f16 v44, v19, s28, v168 op_sel:[0,0,1] op_sel_hi:[1,1,0] neg_lo:[1,0,0] neg_hi:[1,0,0]
	v_lshlrev_b32_e32 v65, 2, v65
	v_pk_add_f16 v1, v35, v1
	v_pack_b32_f16 v2, v27, v28
	v_pk_mul_f16 v170, v45, s27
	s_mov_b32 s37, 0x31e1ba62
	s_mov_b32 s27, 0xbbddb461
	v_pk_fma_f16 v38, v21, s36, v169
	v_pk_fma_f16 v47, v21, s36, v169 neg_lo:[0,0,1] neg_hi:[0,0,1]
	ds_write2_b32 v65, v1, v2 offset1:1
	v_bfi_b32 v1, s23, v34, v44
	v_pk_mul_f16 v171, v48, s27
	s_mov_b32 s38, 0x3bb2b1e1
	s_mov_b32 s27, 0xbacd39e9
	v_pk_fma_f16 v39, v22, s37, v170 op_sel:[0,0,1] op_sel_hi:[1,1,0]
	v_pk_fma_f16 v55, v22, s37, v170 op_sel:[0,0,1] op_sel_hi:[1,1,0] neg_lo:[1,0,0] neg_hi:[1,0,0]
	v_pk_add_f16 v1, v1, v20
	v_bfi_b32 v2, s23, v38, v47
	v_pk_mul_f16 v172, v51, s27
	s_mov_b32 s39, 0x39643836
	s_mov_b32 s27, 0xb4613b76
	v_pk_fma_f16 v40, v24, s38, v171 op_sel:[0,0,1] op_sel_hi:[1,1,0]
	v_pk_fma_f16 v59, v24, s38, v171 op_sel:[0,0,1] op_sel_hi:[1,1,0] neg_lo:[1,0,0] neg_hi:[1,0,0]
	v_pk_add_f16 v1, v2, v1
	v_bfi_b32 v2, s23, v39, v55
	v_pk_mul_f16 v173, v54, s27
	s_mov_b32 s40, 0xb5c83bb2
	s_mov_b32 s27, 0x37222de8
	v_pk_fma_f16 v41, v36, s39, v172 op_sel:[0,0,1] op_sel_hi:[1,1,0]
	v_pk_fma_f16 v60, v36, s39, v172 op_sel:[0,0,1] op_sel_hi:[1,1,0] neg_lo:[1,0,0] neg_hi:[1,0,0]
	v_pk_add_f16 v1, v2, v1
	v_bfi_b32 v2, s23, v40, v59
	v_pk_mul_f16 v174, v56, s27
	s_mov_b32 s41, 0xbbf73b29
	v_pk_fma_f16 v42, v46, s40, v173 op_sel:[0,0,1] op_sel_hi:[1,1,0]
	v_pk_fma_f16 v61, v46, s40, v173 op_sel:[0,0,1] op_sel_hi:[1,1,0] neg_lo:[1,0,0] neg_hi:[1,0,0]
	v_pk_add_f16 v1, v2, v1
	v_bfi_b32 v2, s23, v41, v60
	s_mov_b32 s27, 0x3b76bacd
	v_pk_fma_f16 v43, v50, s41, v174 op_sel:[0,0,1] op_sel_hi:[1,1,0]
	v_pk_fma_f16 v62, v50, s41, v174 op_sel:[0,0,1] op_sel_hi:[1,1,0] neg_lo:[1,0,0] neg_hi:[1,0,0]
	v_pk_add_f16 v1, v2, v1
	v_bfi_b32 v2, s23, v42, v61
	v_pk_mul_f16 v175, v58, s27
	s_mov_b32 s27, 0xb83635c8
	v_pk_add_f16 v1, v2, v1
	v_bfi_b32 v2, s23, v43, v62
	v_pk_fma_f16 v63, v53, s27, v175 op_sel:[0,0,1] op_sel_hi:[1,1,0] neg_lo:[1,0,0] neg_hi:[1,0,0]
	v_pk_add_f16 v1, v2, v1
	v_pk_fma_f16 v2, v53, s27, v175 op_sel:[0,0,1] op_sel_hi:[1,1,0]
	v_fma_f16 v186, v58, s4, -v185
	v_bfi_b32 v2, s23, v2, v63
	v_add_f16_e32 v178, v186, v178
	v_pk_add_f16 v1, v2, v1
	v_alignbit_b32 v2, v160, v1, 16
	v_pack_b32_f16 v1, v178, v1
	ds_write2_b32 v65, v1, v2 offset0:2 offset1:3
	v_pack_b32_f16 v1, v132, v79
	v_pack_b32_f16 v2, v151, v141
	ds_write2_b32 v65, v2, v1 offset0:4 offset1:5
	v_pack_b32_f16 v1, v52, v49
	v_pack_b32_f16 v2, v68, v57
	ds_write2_b32 v65, v2, v1 offset0:6 offset1:7
	v_pk_mul_f16 v1, v25, s24 op_sel_hi:[1,0]
	v_pk_fma_f16 v2, v19, s21, v1 op_sel:[0,0,1] op_sel_hi:[1,0,0] neg_lo:[1,0,0] neg_hi:[1,0,0]
	v_pk_mul_f16 v3, v26, s30 op_sel_hi:[1,0]
	v_pk_add_f16 v2, v2, v20
	v_pk_fma_f16 v4, v21, s4, v3 op_sel_hi:[1,0,1] neg_lo:[0,0,1] neg_hi:[0,0,1]
	v_pk_add_f16 v2, v4, v2
	v_pk_mul_f16 v4, v45, s22 op_sel_hi:[1,0]
	v_pk_fma_f16 v5, v22, s19, v4 op_sel:[0,0,1] op_sel_hi:[1,0,0] neg_lo:[1,0,0] neg_hi:[1,0,0]
	v_pk_add_f16 v2, v5, v2
	v_pk_mul_f16 v5, v48, s5 op_sel_hi:[1,0]
	v_pk_fma_f16 v6, v24, s29, v5 op_sel:[0,0,1] op_sel_hi:[1,0,0] neg_lo:[1,0,0] neg_hi:[1,0,0]
	v_pk_add_f16 v2, v6, v2
	v_pk_mul_f16 v6, v51, s20 op_sel_hi:[1,0]
	v_pk_fma_f16 v1, v19, s21, v1 op_sel:[0,0,1] op_sel_hi:[1,0,0]
	v_pk_fma_f16 v7, v36, s17, v6 op_sel:[0,0,1] op_sel_hi:[1,0,0] neg_lo:[1,0,0] neg_hi:[1,0,0]
	v_pk_add_f16 v1, v1, v20
	v_pk_fma_f16 v3, v21, s4, v3 op_sel_hi:[1,0,1]
	v_pk_add_f16 v2, v7, v2
	v_pk_mul_f16 v7, v54, s12 op_sel_hi:[1,0]
	v_pk_add_f16 v1, v3, v1
	v_pk_fma_f16 v3, v22, s19, v4 op_sel:[0,0,1] op_sel_hi:[1,0,0]
	v_pk_fma_f16 v8, v46, s33, v7 op_sel:[0,0,1] op_sel_hi:[1,0,0] neg_lo:[1,0,0] neg_hi:[1,0,0]
	v_pk_add_f16 v1, v3, v1
	v_pk_fma_f16 v3, v24, s29, v5 op_sel:[0,0,1] op_sel_hi:[1,0,0]
	v_pk_add_f16 v2, v8, v2
	v_pk_mul_f16 v8, v56, s18 op_sel_hi:[1,0]
	v_pk_add_f16 v1, v3, v1
	v_pk_fma_f16 v3, v36, s17, v6 op_sel:[0,0,1] op_sel_hi:[1,0,0]
	v_pk_fma_f16 v9, v50, s13, v8 op_sel:[0,0,1] op_sel_hi:[1,0,0] neg_lo:[1,0,0] neg_hi:[1,0,0]
	v_pk_add_f16 v1, v3, v1
	v_pk_fma_f16 v3, v46, s33, v7 op_sel:[0,0,1] op_sel_hi:[1,0,0]
	v_pk_add_f16 v37, v34, v20
	v_pk_add_f16 v2, v9, v2
	v_pk_mul_f16 v9, v58, s16 op_sel_hi:[1,0]
	v_pk_add_f16 v1, v3, v1
	v_pk_fma_f16 v3, v50, s13, v8 op_sel:[0,0,1] op_sel_hi:[1,0,0]
	v_pk_add_f16 v37, v38, v37
	v_pk_fma_f16 v10, v53, s31, v9 op_sel:[0,0,1] op_sel_hi:[1,0,0] neg_lo:[1,0,0] neg_hi:[1,0,0]
	v_pk_add_f16 v1, v3, v1
	v_pk_fma_f16 v3, v53, s31, v9 op_sel:[0,0,1] op_sel_hi:[1,0,0]
	v_fma_f16 v31, v21, s24, -v142
	v_pk_add_f16 v37, v39, v37
	v_pk_add_f16 v2, v10, v2
	;; [unrolled: 1-line block ×3, first 2 shown]
	v_add_f16_e32 v30, v31, v30
	v_fma_f16 v31, v77, s18, -v143
	v_pk_add_f16 v37, v40, v37
	v_alignbit_b32 v3, v2, v1, 16
	v_alignbit_b32 v1, v1, v2, 16
	v_add_f16_e32 v30, v31, v30
	v_fma_f16 v31, v81, s4, -v144
	v_pk_add_f16 v37, v41, v37
	v_add_f16_e32 v64, v44, v20
	ds_write2_b32 v65, v1, v3 offset0:8 offset1:9
	v_pack_b32_f16 v1, v13, v12
	v_pack_b32_f16 v2, v23, v14
	v_mul_f16_e32 v148, 0x3964, v53
	v_add_f16_e32 v30, v31, v30
	v_fma_f16 v31, v82, s12, -v145
	v_pk_add_f16 v37, v42, v37
	v_add_f16_e32 v64, v47, v64
	ds_write2_b32 v65, v2, v1 offset0:10 offset1:11
	v_pack_b32_f16 v1, v29, v15
	v_add_f16_e32 v30, v31, v30
	v_fma_f16 v31, v84, s22, -v146
	v_add_f16_e32 v64, v55, v64
	ds_write_b32 v65, v1 offset:48
	v_bfi_b32 v1, s23, v148, v37
	v_pk_mul_f16 v176, v53, s27
	v_add_f16_e32 v30, v31, v30
	v_fma_f16 v31, v85, s20, -v147
	v_add_f16_e32 v64, v59, v64
	v_pk_add_f16 v1, v149, v1 neg_lo:[0,1] neg_hi:[0,1]
	v_pk_add_f16 v2, v43, v37
	v_add_f16_e32 v64, v60, v64
	v_bfi_b32 v1, s23, v1, v2
	v_pack_b32_f16 v2, v31, v175
	v_bfi_b32 v3, s23, v30, v176
	v_add_f16_e32 v64, v61, v64
	v_pk_add_f16 v2, v2, v3
	v_add_f16_e32 v64, v62, v64
	v_pk_add_f16 v1, v1, v2
	v_add_f16_e32 v64, v63, v64
	v_alignbit_b32 v2, v33, v1, 16
	v_pack_b32_f16 v1, v32, v1
	s_mov_b32 s4, 0x5040100
	ds_write2_b32 v65, v1, v2 offset0:13 offset1:14
	v_pack_b32_f16 v0, v0, v64
	v_perm_b32 v1, v120, v18, s4
	ds_write2_b32 v65, v0, v1 offset0:15 offset1:16
.LBB0_7:
	s_or_b64 exec, exec, s[0:1]
	s_movk_i32 s4, 0xf1
	v_mul_lo_u16_sdwa v19, v100, s4 dst_sel:DWORD dst_unused:UNUSED_PAD src0_sel:BYTE_0 src1_sel:DWORD
	v_lshrrev_b16_e32 v124, 12, v19
	s_movk_i32 s0, 0x66
	v_mul_lo_u16_e32 v19, 17, v124
	v_add_co_u32_e64 v49, s[0:1], s0, v100
	v_sub_u16_e32 v125, v100, v19
	s_movk_i32 s0, 0x99
	v_lshlrev_b16_e32 v19, 1, v125
	v_add_co_u32_e64 v51, s[0:1], s0, v100
	v_and_b32_e32 v19, 0xfe, v19
	v_mul_lo_u16_sdwa v21, v118, s4 dst_sel:DWORD dst_unused:UNUSED_PAD src0_sel:BYTE_0 src1_sel:DWORD
	s_movk_i32 s0, 0xcc
	v_lshlrev_b32_e32 v19, 2, v19
	v_lshrrev_b16_e32 v129, 12, v21
	s_waitcnt lgkmcnt(0)
	; wave barrier
	s_waitcnt lgkmcnt(0)
	v_add_co_u32_e64 v53, s[0:1], s0, v100
	global_load_dwordx2 v[19:20], v19, s[2:3]
	v_mul_lo_u16_e32 v21, 17, v129
	s_movk_i32 s0, 0xff
	v_sub_u16_e32 v21, v118, v21
	v_add_co_u32_e64 v55, s[0:1], s0, v100
	v_and_b32_e32 v130, 0xff, v21
	v_mul_lo_u16_sdwa v23, v49, s4 dst_sel:DWORD dst_unused:UNUSED_PAD src0_sel:BYTE_0 src1_sel:DWORD
	s_movk_i32 s0, 0x132
	v_lshlrev_b32_e32 v21, 3, v130
	global_load_dwordx2 v[21:22], v21, s[2:3]
	v_lshrrev_b16_e32 v131, 12, v23
	v_add_co_u32_e64 v57, s[0:1], s0, v100
	v_mul_lo_u16_e32 v23, 17, v131
	s_movk_i32 s0, 0x165
	v_sub_u16_e32 v23, v49, v23
	v_add_co_u32_e64 v59, s[0:1], s0, v100
	v_and_b32_e32 v132, 0xff, v23
	v_mul_lo_u16_sdwa v25, v51, s4 dst_sel:DWORD dst_unused:UNUSED_PAD src0_sel:BYTE_0 src1_sel:DWORD
	s_movk_i32 s0, 0x198
	v_lshlrev_b32_e32 v23, 3, v132
	global_load_dwordx2 v[23:24], v23, s[2:3]
	v_lshrrev_b16_e32 v133, 12, v25
	v_add_co_u32_e64 v61, s[0:1], s0, v100
	;; [unrolled: 11-line block ×3, first 2 shown]
	v_mul_lo_u16_e32 v27, 17, v135
	v_sub_u16_e32 v27, v53, v27
	s_mov_b32 s0, 0xf0f1
	v_and_b32_e32 v136, 0xff, v27
	v_mul_u32_u24_sdwa v29, v55, s0 dst_sel:DWORD dst_unused:UNUSED_PAD src0_sel:WORD_0 src1_sel:DWORD
	v_lshlrev_b32_e32 v27, 3, v136
	v_lshrrev_b32_e32 v137, 20, v29
	global_load_dwordx2 v[27:28], v27, s[2:3]
	v_mul_lo_u16_e32 v29, 17, v137
	v_sub_u16_e32 v138, v55, v29
	v_lshlrev_b16_e32 v29, 1, v138
	v_mul_u32_u24_sdwa v31, v57, s0 dst_sel:DWORD dst_unused:UNUSED_PAD src0_sel:WORD_0 src1_sel:DWORD
	v_lshlrev_b32_e32 v29, 2, v29
	global_load_dwordx2 v[29:30], v29, s[2:3]
	v_lshrrev_b32_e32 v140, 20, v31
	v_mul_lo_u16_e32 v31, 17, v140
	v_sub_u16_e32 v141, v57, v31
	v_lshlrev_b16_e32 v31, 1, v141
	v_mul_u32_u24_sdwa v33, v59, s0 dst_sel:DWORD dst_unused:UNUSED_PAD src0_sel:WORD_0 src1_sel:DWORD
	v_lshlrev_b32_e32 v31, 2, v31
	global_load_dwordx2 v[31:32], v31, s[2:3]
	v_lshrrev_b32_e32 v143, 20, v33
	;; [unrolled: 7-line block ×3, first 2 shown]
	v_mul_lo_u16_e32 v35, 17, v146
	v_sub_u16_e32 v147, v61, v35
	v_lshlrev_b16_e32 v35, 1, v147
	v_mul_u32_u24_sdwa v37, v63, s0 dst_sel:DWORD dst_unused:UNUSED_PAD src0_sel:WORD_0 src1_sel:DWORD
	v_lshlrev_b32_e32 v35, 2, v35
	v_lshrrev_b32_e32 v149, 20, v37
	global_load_dwordx2 v[35:36], v35, s[2:3]
	v_mul_lo_u16_e32 v37, 17, v149
	v_sub_u16_e32 v150, v63, v37
	v_lshlrev_b16_e32 v37, 1, v150
	v_mul_u32_u24_sdwa v39, v65, s0 dst_sel:DWORD dst_unused:UNUSED_PAD src0_sel:WORD_0 src1_sel:DWORD
	v_lshlrev_b32_e32 v37, 2, v37
	global_load_dwordx2 v[37:38], v37, s[2:3]
	v_lshrrev_b32_e32 v152, 20, v39
	v_mul_lo_u16_e32 v39, 17, v152
	v_sub_u16_e32 v153, v65, v39
	v_lshlrev_b16_e32 v39, 1, v153
	v_lshlrev_b32_e32 v39, 2, v39
	global_load_dwordx2 v[39:40], v39, s[2:3]
	v_add_u32_e32 v89, 0x600, v99
	ds_read2_b32 v[0:1], v89 offset0:126 offset1:177
	v_add_u32_e32 v88, 0x1000, v99
	ds_read2_b32 v[4:5], v88 offset0:98 offset1:149
	;; [unrolled: 2-line block ×3, first 2 shown]
	s_waitcnt lgkmcnt(2)
	v_lshrrev_b32_e32 v52, 16, v1
	s_waitcnt vmcnt(10)
	v_mul_f16_sdwa v151, v52, v19 dst_sel:DWORD dst_unused:UNUSED_PAD src0_sel:DWORD src1_sel:WORD_1
	s_waitcnt lgkmcnt(1)
	v_lshrrev_b32_e32 v54, 16, v4
	v_fma_f16 v151, v1, v19, -v151
	v_mul_f16_sdwa v1, v1, v19 dst_sel:DWORD dst_unused:UNUSED_PAD src0_sel:DWORD src1_sel:WORD_1
	v_fma_f16 v1, v52, v19, v1
	v_mul_f16_sdwa v52, v54, v20 dst_sel:DWORD dst_unused:UNUSED_PAD src0_sel:DWORD src1_sel:WORD_1
	s_waitcnt lgkmcnt(0)
	v_lshrrev_b32_e32 v58, 16, v6
	v_fma_f16 v52, v4, v20, -v52
	v_mul_f16_sdwa v4, v4, v20 dst_sel:DWORD dst_unused:UNUSED_PAD src0_sel:DWORD src1_sel:WORD_1
	ds_read2_b32 v[10:11], v88 offset0:200 offset1:251
	v_fma_f16 v4, v54, v20, v4
	s_waitcnt vmcnt(9)
	v_mul_f16_sdwa v54, v58, v21 dst_sel:DWORD dst_unused:UNUSED_PAD src0_sel:DWORD src1_sel:WORD_1
	v_lshrrev_b32_e32 v60, 16, v5
	v_fma_f16 v54, v6, v21, -v54
	v_mul_f16_sdwa v6, v6, v21 dst_sel:DWORD dst_unused:UNUSED_PAD src0_sel:DWORD src1_sel:WORD_1
	ds_read2_b32 v[12:13], v87 offset0:202 offset1:253
	v_fma_f16 v6, v58, v21, v6
	v_mul_f16_sdwa v58, v60, v22 dst_sel:DWORD dst_unused:UNUSED_PAD src0_sel:DWORD src1_sel:WORD_1
	v_lshrrev_b32_e32 v64, 16, v7
	v_fma_f16 v58, v5, v22, -v58
	v_mul_f16_sdwa v5, v5, v22 dst_sel:DWORD dst_unused:UNUSED_PAD src0_sel:DWORD src1_sel:WORD_1
	v_fma_f16 v5, v60, v22, v5
	s_waitcnt vmcnt(8)
	v_mul_f16_sdwa v60, v64, v23 dst_sel:DWORD dst_unused:UNUSED_PAD src0_sel:DWORD src1_sel:WORD_1
	s_waitcnt lgkmcnt(1)
	v_lshrrev_b32_e32 v74, 16, v10
	v_fma_f16 v60, v7, v23, -v60
	v_mul_f16_sdwa v7, v7, v23 dst_sel:DWORD dst_unused:UNUSED_PAD src0_sel:DWORD src1_sel:WORD_1
	v_fma_f16 v7, v64, v23, v7
	v_mul_f16_sdwa v64, v74, v24 dst_sel:DWORD dst_unused:UNUSED_PAD src0_sel:DWORD src1_sel:WORD_1
	s_waitcnt lgkmcnt(0)
	v_lshrrev_b32_e32 v76, 16, v12
	v_add_u32_e32 v97, 0x1400, v99
	v_fma_f16 v64, v10, v24, -v64
	v_mul_f16_sdwa v10, v10, v24 dst_sel:DWORD dst_unused:UNUSED_PAD src0_sel:DWORD src1_sel:WORD_1
	ds_read2_b32 v[41:42], v97 offset0:46 offset1:97
	v_fma_f16 v10, v74, v24, v10
	s_waitcnt vmcnt(7)
	v_mul_f16_sdwa v74, v76, v25 dst_sel:DWORD dst_unused:UNUSED_PAD src0_sel:DWORD src1_sel:WORD_1
	v_lshrrev_b32_e32 v77, 16, v11
	v_add_u32_e32 v90, 0xc00, v99
	v_fma_f16 v74, v12, v25, -v74
	v_mul_f16_sdwa v12, v12, v25 dst_sel:DWORD dst_unused:UNUSED_PAD src0_sel:DWORD src1_sel:WORD_1
	ds_read2_b32 v[43:44], v90 offset0:48 offset1:99
	v_fma_f16 v12, v76, v25, v12
	v_mul_f16_sdwa v76, v77, v26 dst_sel:DWORD dst_unused:UNUSED_PAD src0_sel:DWORD src1_sel:WORD_1
	v_lshrrev_b32_e32 v79, 16, v13
	v_fma_f16 v76, v11, v26, -v76
	v_mul_f16_sdwa v11, v11, v26 dst_sel:DWORD dst_unused:UNUSED_PAD src0_sel:DWORD src1_sel:WORD_1
	v_fma_f16 v11, v77, v26, v11
	s_waitcnt vmcnt(6)
	v_mul_f16_sdwa v77, v79, v27 dst_sel:DWORD dst_unused:UNUSED_PAD src0_sel:DWORD src1_sel:WORD_1
	s_waitcnt lgkmcnt(1)
	v_lshrrev_b32_e32 v80, 16, v41
	v_fma_f16 v77, v13, v27, -v77
	v_mul_f16_sdwa v13, v13, v27 dst_sel:DWORD dst_unused:UNUSED_PAD src0_sel:DWORD src1_sel:WORD_1
	v_fma_f16 v13, v79, v27, v13
	v_mul_f16_sdwa v79, v80, v28 dst_sel:DWORD dst_unused:UNUSED_PAD src0_sel:DWORD src1_sel:WORD_1
	s_waitcnt lgkmcnt(0)
	v_lshrrev_b32_e32 v82, 16, v43
	v_fma_f16 v79, v41, v28, -v79
	v_mul_f16_sdwa v41, v41, v28 dst_sel:DWORD dst_unused:UNUSED_PAD src0_sel:DWORD src1_sel:WORD_1
	ds_read2_b32 v[47:48], v97 offset0:148 offset1:199
	v_fma_f16 v41, v80, v28, v41
	s_waitcnt vmcnt(5)
	v_mul_f16_sdwa v80, v82, v29 dst_sel:DWORD dst_unused:UNUSED_PAD src0_sel:DWORD src1_sel:WORD_1
	v_lshrrev_b32_e32 v83, 16, v42
	v_fma_f16 v80, v43, v29, -v80
	v_mul_f16_sdwa v43, v43, v29 dst_sel:DWORD dst_unused:UNUSED_PAD src0_sel:DWORD src1_sel:WORD_1
	ds_read2_b32 v[66:67], v90 offset0:150 offset1:201
	v_fma_f16 v43, v82, v29, v43
	v_mul_f16_sdwa v82, v83, v30 dst_sel:DWORD dst_unused:UNUSED_PAD src0_sel:DWORD src1_sel:WORD_1
	v_lshrrev_b32_e32 v85, 16, v44
	v_fma_f16 v82, v42, v30, -v82
	v_mul_f16_sdwa v42, v42, v30 dst_sel:DWORD dst_unused:UNUSED_PAD src0_sel:DWORD src1_sel:WORD_1
	v_fma_f16 v42, v83, v30, v42
	s_waitcnt vmcnt(4)
	v_mul_f16_sdwa v83, v85, v31 dst_sel:DWORD dst_unused:UNUSED_PAD src0_sel:DWORD src1_sel:WORD_1
	s_waitcnt lgkmcnt(1)
	v_lshrrev_b32_e32 v86, 16, v47
	v_fma_f16 v83, v44, v31, -v83
	v_mul_f16_sdwa v44, v44, v31 dst_sel:DWORD dst_unused:UNUSED_PAD src0_sel:DWORD src1_sel:WORD_1
	v_fma_f16 v44, v85, v31, v44
	v_mul_f16_sdwa v85, v86, v32 dst_sel:DWORD dst_unused:UNUSED_PAD src0_sel:DWORD src1_sel:WORD_1
	s_waitcnt lgkmcnt(0)
	v_lshrrev_b32_e32 v95, 16, v66
	v_add_u32_e32 v92, 0x1600, v99
	v_fma_f16 v85, v47, v32, -v85
	v_mul_f16_sdwa v47, v47, v32 dst_sel:DWORD dst_unused:UNUSED_PAD src0_sel:DWORD src1_sel:WORD_1
	ds_read2_b32 v[70:71], v92 offset0:122 offset1:173
	v_fma_f16 v47, v86, v32, v47
	s_waitcnt vmcnt(3)
	v_mul_f16_sdwa v86, v95, v33 dst_sel:DWORD dst_unused:UNUSED_PAD src0_sel:DWORD src1_sel:WORD_1
	v_lshrrev_b32_e32 v96, 16, v48
	v_add_u32_e32 v93, 0xe00, v99
	v_fma_f16 v86, v66, v33, -v86
	v_mul_f16_sdwa v66, v66, v33 dst_sel:DWORD dst_unused:UNUSED_PAD src0_sel:DWORD src1_sel:WORD_1
	ds_read2_b32 v[72:73], v93 offset0:124 offset1:175
	v_fma_f16 v66, v95, v33, v66
	v_mul_f16_sdwa v95, v96, v34 dst_sel:DWORD dst_unused:UNUSED_PAD src0_sel:DWORD src1_sel:WORD_1
	v_lshrrev_b32_e32 v122, 16, v67
	v_fma_f16 v95, v48, v34, -v95
	v_mul_f16_sdwa v48, v48, v34 dst_sel:DWORD dst_unused:UNUSED_PAD src0_sel:DWORD src1_sel:WORD_1
	v_fma_f16 v48, v96, v34, v48
	s_waitcnt vmcnt(2)
	v_mul_f16_sdwa v96, v122, v35 dst_sel:DWORD dst_unused:UNUSED_PAD src0_sel:DWORD src1_sel:WORD_1
	s_waitcnt lgkmcnt(1)
	v_lshrrev_b32_e32 v123, 16, v70
	v_fma_f16 v96, v67, v35, -v96
	v_mul_f16_sdwa v67, v67, v35 dst_sel:DWORD dst_unused:UNUSED_PAD src0_sel:DWORD src1_sel:WORD_1
	v_fma_f16 v67, v122, v35, v67
	v_mul_f16_sdwa v122, v123, v36 dst_sel:DWORD dst_unused:UNUSED_PAD src0_sel:DWORD src1_sel:WORD_1
	s_waitcnt lgkmcnt(0)
	v_lshrrev_b32_e32 v127, 16, v72
	v_fma_f16 v122, v70, v36, -v122
	v_mul_f16_sdwa v70, v70, v36 dst_sel:DWORD dst_unused:UNUSED_PAD src0_sel:DWORD src1_sel:WORD_1
	ds_read_b32 v145, v99 offset:6528
	v_fma_f16 v70, v123, v36, v70
	s_waitcnt vmcnt(1)
	v_mul_f16_sdwa v123, v127, v37 dst_sel:DWORD dst_unused:UNUSED_PAD src0_sel:DWORD src1_sel:WORD_1
	v_lshrrev_b32_e32 v128, 16, v71
	v_fma_f16 v123, v72, v37, -v123
	v_mul_f16_sdwa v72, v72, v37 dst_sel:DWORD dst_unused:UNUSED_PAD src0_sel:DWORD src1_sel:WORD_1
	v_fma_f16 v72, v127, v37, v72
	v_mul_f16_sdwa v127, v128, v38 dst_sel:DWORD dst_unused:UNUSED_PAD src0_sel:DWORD src1_sel:WORD_1
	ds_read2_b32 v[2:3], v99 offset1:51
	v_lshrrev_b32_e32 v142, 16, v73
	v_fma_f16 v127, v71, v38, -v127
	v_mul_f16_sdwa v71, v71, v38 dst_sel:DWORD dst_unused:UNUSED_PAD src0_sel:DWORD src1_sel:WORD_1
	v_fma_f16 v71, v128, v38, v71
	s_waitcnt vmcnt(0)
	v_mul_f16_sdwa v128, v142, v39 dst_sel:DWORD dst_unused:UNUSED_PAD src0_sel:DWORD src1_sel:WORD_1
	s_waitcnt lgkmcnt(1)
	v_lshrrev_b32_e32 v148, 16, v145
	v_fma_f16 v128, v73, v39, -v128
	v_mul_f16_sdwa v73, v73, v39 dst_sel:DWORD dst_unused:UNUSED_PAD src0_sel:DWORD src1_sel:WORD_1
	v_fma_f16 v73, v142, v39, v73
	v_mul_f16_sdwa v142, v148, v40 dst_sel:DWORD dst_unused:UNUSED_PAD src0_sel:DWORD src1_sel:WORD_1
	v_fma_f16 v142, v145, v40, -v142
	v_mul_f16_sdwa v145, v145, v40 dst_sel:DWORD dst_unused:UNUSED_PAD src0_sel:DWORD src1_sel:WORD_1
	v_add_f16_e32 v154, v151, v52
	s_waitcnt lgkmcnt(0)
	v_lshrrev_b32_e32 v50, 16, v2
	v_fma_f16 v145, v148, v40, v145
	v_add_f16_e32 v148, v2, v151
	v_fma_f16 v2, v154, -0.5, v2
	v_sub_f16_e32 v154, v1, v4
	s_movk_i32 s0, 0x3aee
	s_mov_b32 s1, 0xbaee
	v_fma_f16 v155, v154, s0, v2
	v_fma_f16 v2, v154, s1, v2
	v_add_f16_e32 v154, v50, v1
	v_add_f16_e32 v1, v1, v4
	ds_read2_b32 v[8:9], v99 offset0:102 offset1:153
	v_add_f16_e32 v148, v148, v52
	v_add_f16_e32 v154, v154, v4
	v_fma_f16 v1, v1, -0.5, v50
	v_sub_f16_e32 v4, v151, v52
	v_add_f16_e32 v52, v54, v58
	v_lshrrev_b32_e32 v56, 16, v3
	v_fma_f16 v50, v4, s1, v1
	v_fma_f16 v1, v4, s0, v1
	v_add_f16_e32 v4, v3, v54
	v_fma_f16 v3, v52, -0.5, v3
	v_sub_f16_e32 v52, v6, v5
	v_fma_f16 v151, v52, s0, v3
	v_fma_f16 v3, v52, s1, v3
	v_add_f16_e32 v52, v56, v6
	v_add_f16_e32 v52, v52, v5
	;; [unrolled: 1-line block ×3, first 2 shown]
	v_fma_f16 v5, v5, -0.5, v56
	v_sub_f16_e32 v6, v54, v58
	v_add_f16_e32 v56, v60, v64
	s_waitcnt lgkmcnt(0)
	v_lshrrev_b32_e32 v62, 16, v8
	v_fma_f16 v54, v6, s1, v5
	v_fma_f16 v5, v6, s0, v5
	v_add_f16_e32 v6, v8, v60
	v_fma_f16 v8, v56, -0.5, v8
	v_sub_f16_e32 v56, v7, v10
	v_add_f16_e32 v4, v4, v58
	v_fma_f16 v58, v56, s0, v8
	v_fma_f16 v8, v56, s1, v8
	v_add_f16_e32 v56, v62, v7
	v_add_f16_e32 v7, v7, v10
	ds_read2_b32 v[14:15], v99 offset0:204 offset1:255
	v_add_f16_e32 v56, v56, v10
	v_fma_f16 v7, v7, -0.5, v62
	v_sub_f16_e32 v10, v60, v64
	v_add_f16_e32 v62, v74, v76
	v_lshrrev_b32_e32 v75, 16, v9
	v_fma_f16 v60, v10, s1, v7
	v_fma_f16 v7, v10, s0, v7
	v_add_f16_e32 v10, v9, v74
	v_fma_f16 v9, v62, -0.5, v9
	v_sub_f16_e32 v62, v12, v11
	v_add_f16_e32 v6, v6, v64
	v_fma_f16 v64, v62, s0, v9
	v_fma_f16 v9, v62, s1, v9
	v_add_f16_e32 v62, v75, v12
	v_add_f16_e32 v62, v62, v11
	;; [unrolled: 1-line block ×3, first 2 shown]
	v_fma_f16 v11, v11, -0.5, v75
	v_sub_f16_e32 v12, v74, v76
	v_add_f16_e32 v75, v77, v79
	s_waitcnt lgkmcnt(0)
	v_lshrrev_b32_e32 v78, 16, v14
	v_fma_f16 v74, v12, s1, v11
	v_fma_f16 v11, v12, s0, v11
	v_add_f16_e32 v12, v14, v77
	v_fma_f16 v14, v75, -0.5, v14
	v_sub_f16_e32 v75, v13, v41
	v_add_u32_e32 v91, 0x400, v99
	v_add_f16_e32 v10, v10, v76
	v_fma_f16 v76, v75, s0, v14
	v_fma_f16 v14, v75, s1, v14
	v_add_f16_e32 v75, v78, v13
	v_add_f16_e32 v13, v13, v41
	ds_read2_b32 v[45:46], v91 offset0:50 offset1:101
	v_add_f16_e32 v75, v75, v41
	v_fma_f16 v13, v13, -0.5, v78
	v_sub_f16_e32 v41, v77, v79
	v_add_f16_e32 v78, v80, v82
	v_lshrrev_b32_e32 v81, 16, v15
	v_fma_f16 v77, v41, s1, v13
	v_fma_f16 v13, v41, s0, v13
	v_add_f16_e32 v41, v15, v80
	v_fma_f16 v15, v78, -0.5, v15
	v_sub_f16_e32 v78, v43, v42
	v_add_f16_e32 v12, v12, v79
	v_fma_f16 v79, v78, s0, v15
	v_fma_f16 v15, v78, s1, v15
	v_add_f16_e32 v78, v81, v43
	v_add_f16_e32 v78, v78, v42
	;; [unrolled: 1-line block ×3, first 2 shown]
	v_fma_f16 v42, v42, -0.5, v81
	v_sub_f16_e32 v43, v80, v82
	v_add_f16_e32 v81, v83, v85
	s_waitcnt lgkmcnt(0)
	v_lshrrev_b32_e32 v84, 16, v45
	v_fma_f16 v80, v43, s1, v42
	v_fma_f16 v42, v43, s0, v42
	v_add_f16_e32 v43, v45, v83
	v_fma_f16 v45, v81, -0.5, v45
	v_sub_f16_e32 v81, v44, v47
	v_add_f16_e32 v41, v41, v82
	v_fma_f16 v82, v81, s0, v45
	v_fma_f16 v45, v81, s1, v45
	v_add_f16_e32 v81, v84, v44
	v_add_f16_e32 v44, v44, v47
	ds_read2_b32 v[68:69], v91 offset0:152 offset1:203
	v_add_f16_e32 v81, v81, v47
	v_fma_f16 v44, v44, -0.5, v84
	v_sub_f16_e32 v47, v83, v85
	v_add_f16_e32 v84, v86, v95
	v_lshrrev_b32_e32 v94, 16, v46
	v_fma_f16 v83, v47, s1, v44
	v_fma_f16 v44, v47, s0, v44
	v_add_f16_e32 v47, v46, v86
	v_fma_f16 v46, v84, -0.5, v46
	v_sub_f16_e32 v84, v66, v48
	v_add_f16_e32 v43, v43, v85
	v_fma_f16 v85, v84, s0, v46
	v_fma_f16 v46, v84, s1, v46
	v_add_f16_e32 v84, v94, v66
	v_add_f16_e32 v84, v84, v48
	;; [unrolled: 1-line block ×3, first 2 shown]
	v_fma_f16 v48, v48, -0.5, v94
	v_sub_f16_e32 v66, v86, v95
	v_add_f16_e32 v94, v96, v122
	s_waitcnt lgkmcnt(0)
	v_lshrrev_b32_e32 v98, 16, v68
	v_fma_f16 v86, v66, s1, v48
	v_fma_f16 v48, v66, s0, v48
	v_add_f16_e32 v66, v68, v96
	v_fma_f16 v68, v94, -0.5, v68
	v_sub_f16_e32 v94, v67, v70
	v_add_f16_e32 v47, v47, v95
	v_fma_f16 v95, v94, s0, v68
	v_fma_f16 v68, v94, s1, v68
	v_add_f16_e32 v94, v98, v67
	v_add_f16_e32 v67, v67, v70
	;; [unrolled: 1-line block ×3, first 2 shown]
	v_fma_f16 v67, v67, -0.5, v98
	v_sub_f16_e32 v70, v96, v122
	v_add_f16_e32 v98, v123, v127
	v_lshrrev_b32_e32 v126, 16, v69
	v_fma_f16 v96, v70, s1, v67
	v_fma_f16 v67, v70, s0, v67
	v_add_f16_e32 v70, v69, v123
	v_fma_f16 v69, v98, -0.5, v69
	v_sub_f16_e32 v98, v72, v71
	v_fma_f16 v156, v98, s0, v69
	v_fma_f16 v69, v98, s1, v69
	v_add_f16_e32 v98, v126, v72
	v_add_f16_e32 v98, v98, v71
	;; [unrolled: 1-line block ×4, first 2 shown]
	v_fma_f16 v71, v71, -0.5, v126
	v_sub_f16_e32 v72, v123, v127
	v_add_f16_e32 v122, v128, v142
	v_lshrrev_b32_e32 v139, 16, v0
	v_fma_f16 v157, v72, s1, v71
	v_fma_f16 v71, v72, s0, v71
	v_add_f16_e32 v72, v0, v128
	v_fma_f16 v0, v122, -0.5, v0
	v_sub_f16_e32 v122, v73, v145
	v_fma_f16 v158, v122, s0, v0
	v_fma_f16 v0, v122, s1, v0
	v_add_f16_e32 v122, v139, v73
	v_add_f16_e32 v73, v73, v145
	;; [unrolled: 1-line block ×3, first 2 shown]
	v_fma_f16 v73, v73, -0.5, v139
	v_sub_f16_e32 v122, v128, v142
	v_fma_f16 v139, v122, s1, v73
	v_fma_f16 v73, v122, s0, v73
	v_mad_legacy_u16 v122, v124, 51, v125
	v_mov_b32_e32 v123, 2
	v_lshlrev_b32_sdwa v207, v123, v122 dst_sel:DWORD dst_unused:UNUSED_PAD src0_sel:DWORD src1_sel:BYTE_0
	v_pack_b32_f16 v1, v2, v1
	s_waitcnt lgkmcnt(0)
	; wave barrier
	ds_write_b32 v207, v1 offset:136
	v_mul_u32_u24_e32 v1, 51, v129
	v_pack_b32_f16 v123, v148, v154
	v_pack_b32_f16 v50, v155, v50
	v_add_lshl_u32 v208, v1, v130, 2
	v_pack_b32_f16 v1, v4, v52
	v_pack_b32_f16 v2, v151, v54
	ds_write2_b32 v207, v123, v50 offset1:17
	ds_write2_b32 v208, v1, v2 offset1:17
	v_pack_b32_f16 v1, v3, v5
	ds_write_b32 v208, v1 offset:136
	v_mul_u32_u24_e32 v1, 51, v131
	v_add_lshl_u32 v219, v1, v132, 2
	v_pack_b32_f16 v1, v6, v56
	v_pack_b32_f16 v2, v58, v60
	ds_write2_b32 v219, v1, v2 offset1:17
	v_pack_b32_f16 v1, v8, v7
	ds_write_b32 v219, v1 offset:136
	v_mul_u32_u24_e32 v1, 51, v133
	v_add_lshl_u32 v210, v1, v134, 2
	v_pack_b32_f16 v1, v10, v62
	v_pack_b32_f16 v2, v64, v74
	;; [unrolled: 7-line block ×3, first 2 shown]
	ds_write2_b32 v132, v1, v2 offset1:17
	v_pack_b32_f16 v1, v14, v13
	ds_write_b32 v132, v1 offset:136
	v_mad_legacy_u16 v1, v137, 51, v138
	v_lshlrev_b32_e32 v212, 2, v1
	v_pack_b32_f16 v1, v41, v78
	v_pack_b32_f16 v2, v79, v80
	ds_write2_b32 v212, v1, v2 offset1:17
	v_pack_b32_f16 v1, v15, v42
	ds_write_b32 v212, v1 offset:136
	v_mad_legacy_u16 v1, v140, 51, v141
	v_lshlrev_b32_e32 v213, 2, v1
	v_pack_b32_f16 v1, v43, v81
	v_pack_b32_f16 v2, v82, v83
	;; [unrolled: 7-line block ×4, first 2 shown]
	ds_write2_b32 v214, v1, v2 offset1:17
	v_pack_b32_f16 v1, v68, v67
	v_add_f16_e32 v70, v70, v127
	ds_write_b32 v214, v1 offset:136
	v_mad_legacy_u16 v1, v149, 51, v150
	v_lshlrev_b32_e32 v237, 2, v1
	v_pack_b32_f16 v1, v70, v98
	v_pack_b32_f16 v2, v156, v157
	v_mad_u64_u32 v[8:9], s[4:5], v100, 40, s[2:3]
	ds_write2_b32 v237, v1, v2 offset1:17
	v_pack_b32_f16 v1, v69, v71
	v_add_f16_e32 v72, v72, v142
	ds_write_b32 v237, v1 offset:136
	v_mad_legacy_u16 v1, v152, 51, v153
	v_lshlrev_b32_e32 v215, 2, v1
	v_pack_b32_f16 v1, v72, v159
	v_pack_b32_f16 v2, v158, v139
	;; [unrolled: 1-line block ×3, first 2 shown]
	ds_write2_b32 v215, v1, v2 offset1:17
	ds_write_b32 v215, v0 offset:136
	s_waitcnt lgkmcnt(0)
	; wave barrier
	s_waitcnt lgkmcnt(0)
	global_load_dwordx4 v[0:3], v[8:9], off offset:136
	global_load_dwordx4 v[4:7], v[8:9], off offset:152
	ds_read2_b32 v[45:46], v99 offset0:102 offset1:153
	ds_read2_b32 v[66:67], v91 offset0:50 offset1:101
	;; [unrolled: 1-line block ×3, first 2 shown]
	ds_read2_b32 v[47:48], v99 offset1:51
	ds_read2_b32 v[70:71], v87 offset0:100 offset1:151
	ds_read2_b32 v[74:75], v87 offset0:202 offset1:253
	;; [unrolled: 1-line block ×3, first 2 shown]
	global_load_dwordx2 v[41:42], v[8:9], off offset:168
	s_movk_i32 s4, 0xa1
	v_mul_lo_u16_sdwa v8, v49, s4 dst_sel:DWORD dst_unused:UNUSED_PAD src0_sel:BYTE_0 src1_sel:DWORD
	v_lshrrev_b16_e32 v8, 13, v8
	v_mul_lo_u16_e32 v8, 51, v8
	v_sub_u16_e32 v8, v49, v8
	v_and_b32_e32 v50, 0xff, v8
	v_mad_u64_u32 v[43:44], s[4:5], v50, 40, s[2:3]
	s_waitcnt lgkmcnt(6)
	v_lshrrev_b32_e32 v12, 16, v46
	s_waitcnt lgkmcnt(5)
	v_lshrrev_b32_e32 v13, 16, v66
	ds_read2_b32 v[78:79], v93 offset0:124 offset1:175
	ds_read2_b32 v[76:77], v88 offset0:200 offset1:251
	;; [unrolled: 1-line block ×5, first 2 shown]
	s_waitcnt lgkmcnt(9)
	v_lshrrev_b32_e32 v14, 16, v69
	s_waitcnt lgkmcnt(7)
	v_lshrrev_b32_e32 v15, 16, v70
	;; [unrolled: 2-line block ×8, first 2 shown]
	ds_read2_b32 v[94:95], v89 offset0:126 offset1:177
	s_waitcnt lgkmcnt(1)
	v_lshrrev_b32_e32 v64, 16, v84
	v_lshrrev_b32_e32 v86, 16, v67
	ds_read2_b32 v[133:134], v90 offset0:48 offset1:99
	v_lshrrev_b32_e32 v98, 16, v71
	s_waitcnt lgkmcnt(1)
	v_lshrrev_b32_e32 v96, 16, v94
	ds_read2_b32 v[135:136], v88 offset0:98 offset1:149
	v_lshrrev_b32_e32 v142, 16, v73
	s_waitcnt lgkmcnt(1)
	v_lshrrev_b32_e32 v137, 16, v133
	ds_read2_b32 v[140:141], v97 offset0:148 offset1:199
	v_lshrrev_b32_e32 v146, 16, v77
	s_waitcnt lgkmcnt(1)
	v_lshrrev_b32_e32 v145, 16, v135
	v_lshrrev_b32_e32 v152, 16, v83
	v_lshrrev_b32_e32 v153, 16, v85
	s_waitcnt lgkmcnt(0)
	v_lshrrev_b32_e32 v151, 16, v140
	v_lshrrev_b32_e32 v154, 16, v68
	;; [unrolled: 1-line block ×7, first 2 shown]
	ds_read_b32 v158, v99 offset:6528
	v_lshrrev_b32_e32 v161, 16, v80
	v_lshrrev_b32_e32 v162, 16, v141
	s_movk_i32 s12, 0x3abb
	s_movk_i32 s4, 0x36a6
	s_waitcnt lgkmcnt(0)
	v_lshrrev_b32_e32 v163, 16, v158
	s_mov_b32 s5, 0xb08e
	s_mov_b32 s13, 0xb93d
	;; [unrolled: 1-line block ×3, first 2 shown]
	v_lshlrev_b32_e32 v49, 3, v49
	v_lshlrev_b32_e32 v51, 3, v51
	;; [unrolled: 1-line block ×9, first 2 shown]
	s_waitcnt vmcnt(2)
	v_mul_f16_sdwa v8, v12, v0 dst_sel:DWORD dst_unused:UNUSED_PAD src0_sel:DWORD src1_sel:WORD_1
	v_fma_f16 v164, v46, v0, -v8
	v_mul_f16_sdwa v46, v46, v0 dst_sel:DWORD dst_unused:UNUSED_PAD src0_sel:DWORD src1_sel:WORD_1
	global_load_dwordx4 v[8:11], v[43:44], off offset:136
	v_fma_f16 v165, v12, v0, v46
	v_mul_f16_sdwa v12, v13, v1 dst_sel:DWORD dst_unused:UNUSED_PAD src0_sel:DWORD src1_sel:WORD_1
	v_fma_f16 v166, v66, v1, -v12
	v_mul_f16_sdwa v12, v66, v1 dst_sel:DWORD dst_unused:UNUSED_PAD src0_sel:DWORD src1_sel:WORD_1
	v_fma_f16 v167, v13, v1, v12
	v_mul_f16_sdwa v12, v14, v2 dst_sel:DWORD dst_unused:UNUSED_PAD src0_sel:DWORD src1_sel:WORD_1
	v_fma_f16 v168, v69, v2, -v12
	v_mul_f16_sdwa v12, v69, v2 dst_sel:DWORD dst_unused:UNUSED_PAD src0_sel:DWORD src1_sel:WORD_1
	;; [unrolled: 4-line block ×3, first 2 shown]
	v_fma_f16 v171, v15, v3, v12
	s_waitcnt vmcnt(2)
	v_mul_f16_sdwa v12, v52, v4 dst_sel:DWORD dst_unused:UNUSED_PAD src0_sel:DWORD src1_sel:WORD_1
	v_fma_f16 v172, v75, v4, -v12
	global_load_dwordx4 v[12:15], v[43:44], off offset:152
	v_mul_f16_sdwa v46, v75, v4 dst_sel:DWORD dst_unused:UNUSED_PAD src0_sel:DWORD src1_sel:WORD_1
	global_load_dwordx2 v[43:44], v[43:44], off offset:168
	v_fma_f16 v173, v52, v4, v46
	v_mul_f16_sdwa v46, v54, v5 dst_sel:DWORD dst_unused:UNUSED_PAD src0_sel:DWORD src1_sel:WORD_1
	v_fma_f16 v174, v72, v5, -v46
	v_mul_f16_sdwa v46, v72, v5 dst_sel:DWORD dst_unused:UNUSED_PAD src0_sel:DWORD src1_sel:WORD_1
	v_fma_f16 v175, v54, v5, v46
	v_mul_f16_sdwa v46, v56, v6 dst_sel:DWORD dst_unused:UNUSED_PAD src0_sel:DWORD src1_sel:WORD_1
	v_fma_f16 v176, v79, v6, -v46
	v_mul_f16_sdwa v46, v79, v6 dst_sel:DWORD dst_unused:UNUSED_PAD src0_sel:DWORD src1_sel:WORD_1
	;; [unrolled: 4-line block ×3, first 2 shown]
	v_fma_f16 v178, v58, v7, v46
	s_waitcnt vmcnt(3)
	v_mul_f16_sdwa v46, v60, v41 dst_sel:DWORD dst_unused:UNUSED_PAD src0_sel:DWORD src1_sel:WORD_1
	v_fma_f16 v179, v81, v41, -v46
	v_mul_f16_sdwa v46, v81, v41 dst_sel:DWORD dst_unused:UNUSED_PAD src0_sel:DWORD src1_sel:WORD_1
	v_fma_f16 v81, v60, v41, v46
	v_mul_f16_sdwa v46, v62, v42 dst_sel:DWORD dst_unused:UNUSED_PAD src0_sel:DWORD src1_sel:WORD_1
	v_fma_f16 v180, v82, v42, -v46
	v_mul_f16_sdwa v46, v82, v42 dst_sel:DWORD dst_unused:UNUSED_PAD src0_sel:DWORD src1_sel:WORD_1
	v_fma_f16 v82, v62, v42, v46
	;; [unrolled: 4-line block ×12, first 2 shown]
	s_waitcnt vmcnt(2)
	v_mul_f16_sdwa v46, v153, v8 dst_sel:DWORD dst_unused:UNUSED_PAD src0_sel:DWORD src1_sel:WORD_1
	v_fma_f16 v76, v85, v8, -v46
	v_mul_f16_sdwa v46, v85, v8 dst_sel:DWORD dst_unused:UNUSED_PAD src0_sel:DWORD src1_sel:WORD_1
	v_fma_f16 v77, v153, v8, v46
	v_mul_f16_sdwa v46, v154, v9 dst_sel:DWORD dst_unused:UNUSED_PAD src0_sel:DWORD src1_sel:WORD_1
	v_fma_f16 v72, v68, v9, -v46
	v_mul_f16_sdwa v46, v68, v9 dst_sel:DWORD dst_unused:UNUSED_PAD src0_sel:DWORD src1_sel:WORD_1
	v_fma_f16 v73, v154, v9, v46
	;; [unrolled: 4-line block ×4, first 2 shown]
	s_waitcnt vmcnt(1)
	v_mul_f16_sdwa v46, v157, v12 dst_sel:DWORD dst_unused:UNUSED_PAD src0_sel:DWORD src1_sel:WORD_1
	v_add_f16_sdwa v52, v47, v165 dst_sel:DWORD dst_unused:UNUSED_PAD src0_sel:WORD_1 src1_sel:DWORD
	v_fma_f16 v54, v134, v12, -v46
	v_mul_f16_sdwa v46, v134, v12 dst_sel:DWORD dst_unused:UNUSED_PAD src0_sel:DWORD src1_sel:WORD_1
	v_add_f16_e32 v52, v52, v167
	v_fma_f16 v56, v157, v12, v46
	v_mul_f16_sdwa v46, v159, v13 dst_sel:DWORD dst_unused:UNUSED_PAD src0_sel:DWORD src1_sel:WORD_1
	v_add_f16_e32 v52, v52, v169
	v_fma_f16 v58, v78, v13, -v46
	v_mul_f16_sdwa v46, v78, v13 dst_sel:DWORD dst_unused:UNUSED_PAD src0_sel:DWORD src1_sel:WORD_1
	v_add_f16_e32 v52, v52, v171
	v_fma_f16 v60, v159, v13, v46
	v_mul_f16_sdwa v46, v160, v14 dst_sel:DWORD dst_unused:UNUSED_PAD src0_sel:DWORD src1_sel:WORD_1
	v_add_f16_e32 v52, v52, v173
	;; [unrolled: 6-line block ×3, first 2 shown]
	v_fma_f16 v70, v80, v15, -v46
	v_mul_f16_sdwa v46, v80, v15 dst_sel:DWORD dst_unused:UNUSED_PAD src0_sel:DWORD src1_sel:WORD_1
	v_add_f16_e32 v52, v52, v178
	v_fma_f16 v71, v161, v15, v46
	s_waitcnt vmcnt(0)
	v_mul_f16_sdwa v46, v162, v43 dst_sel:DWORD dst_unused:UNUSED_PAD src0_sel:DWORD src1_sel:WORD_1
	v_add_f16_e32 v52, v52, v81
	v_fma_f16 v74, v141, v43, -v46
	v_mul_f16_sdwa v46, v141, v43 dst_sel:DWORD dst_unused:UNUSED_PAD src0_sel:DWORD src1_sel:WORD_1
	v_add_f16_e32 v52, v52, v82
	v_add_f16_e32 v80, v165, v82
	v_sub_f16_e32 v83, v164, v180
	v_sub_f16_e32 v82, v165, v82
	v_fma_f16 v75, v162, v43, v46
	v_mul_f16_sdwa v46, v163, v44 dst_sel:DWORD dst_unused:UNUSED_PAD src0_sel:DWORD src1_sel:WORD_1
	v_add_f16_e32 v78, v164, v180
	v_mul_f16_e32 v84, 0xb853, v82
	v_mul_f16_e32 v86, 0xb853, v83
	;; [unrolled: 1-line block ×10, first 2 shown]
	v_fma_f16 v96, v158, v44, -v46
	v_mul_f16_sdwa v46, v158, v44 dst_sel:DWORD dst_unused:UNUSED_PAD src0_sel:DWORD src1_sel:WORD_1
	v_fma_f16 v85, v78, s12, -v84
	v_fma_f16 v94, v80, s12, v86
	v_fma_f16 v84, v78, s12, v84
	v_fma_f16 v86, v80, s12, -v86
	v_fma_f16 v133, v78, s4, -v95
	v_fma_f16 v135, v80, s4, v134
	v_fma_f16 v95, v78, s4, v95
	v_fma_f16 v134, v80, s4, -v134
	;; [unrolled: 4-line block ×5, first 2 shown]
	v_add_f16_e32 v82, v167, v81
	v_sub_f16_e32 v81, v167, v81
	v_fma_f16 v98, v163, v44, v46
	v_add_f16_e32 v46, v47, v164
	v_add_f16_e32 v85, v47, v85
	v_add_f16_sdwa v94, v47, v94 dst_sel:DWORD dst_unused:UNUSED_PAD src0_sel:WORD_1 src1_sel:DWORD
	v_add_f16_e32 v84, v47, v84
	v_add_f16_sdwa v86, v47, v86 dst_sel:DWORD dst_unused:UNUSED_PAD src0_sel:WORD_1 src1_sel:DWORD
	;; [unrolled: 2-line block ×10, first 2 shown]
	v_add_f16_e32 v80, v166, v179
	v_mul_f16_e32 v156, 0xbb47, v81
	v_sub_f16_e32 v83, v166, v179
	v_fma_f16 v157, v80, s4, -v156
	v_add_f16_e32 v85, v157, v85
	v_mul_f16_e32 v157, 0xbb47, v83
	v_fma_f16 v156, v80, s4, v156
	v_add_f16_e32 v84, v156, v84
	v_fma_f16 v156, v82, s4, -v157
	v_add_f16_e32 v86, v156, v86
	v_mul_f16_e32 v156, 0xba0c, v81
	v_fma_f16 v158, v82, s4, v157
	v_fma_f16 v157, v80, s13, -v156
	v_add_f16_e32 v133, v157, v133
	v_mul_f16_e32 v157, 0xba0c, v83
	v_fma_f16 v156, v80, s13, v156
	v_add_f16_e32 v95, v156, v95
	v_fma_f16 v156, v82, s13, -v157
	v_add_f16_e32 v134, v156, v134
	v_mul_f16_e32 v156, 0x3482, v81
	v_add_f16_e32 v94, v158, v94
	v_fma_f16 v158, v82, s13, v157
	v_fma_f16 v157, v80, s16, -v156
	v_add_f16_e32 v137, v157, v137
	v_mul_f16_e32 v157, 0x3482, v83
	v_fma_f16 v156, v80, s16, v156
	v_add_f16_e32 v136, v156, v136
	v_fma_f16 v156, v82, s16, -v157
	v_add_f16_e32 v140, v156, v140
	v_mul_f16_e32 v156, 0x3beb, v81
	v_add_f16_e32 v135, v158, v135
	v_fma_f16 v158, v82, s16, v157
	v_fma_f16 v157, v80, s5, -v156
	v_add_f16_e32 v145, v157, v145
	v_mul_f16_e32 v157, 0x3beb, v83
	v_fma_f16 v156, v80, s5, v156
	v_add_f16_e32 v142, v156, v142
	v_fma_f16 v156, v82, s5, -v157
	v_mul_f16_e32 v81, 0x3853, v81
	v_add_f16_e32 v146, v156, v146
	v_fma_f16 v156, v80, s12, -v81
	v_mul_f16_e32 v83, 0x3853, v83
	v_fma_f16 v80, v80, s12, v81
	v_add_f16_e32 v154, v156, v154
	v_fma_f16 v156, v82, s12, v83
	v_add_f16_e32 v78, v80, v78
	v_fma_f16 v80, v82, s12, -v83
	v_sub_f16_e32 v83, v169, v178
	v_add_f16_e32 v155, v156, v155
	v_add_f16_e32 v47, v80, v47
	;; [unrolled: 1-line block ×3, first 2 shown]
	v_mul_f16_e32 v156, 0xbbeb, v83
	v_add_f16_e32 v141, v158, v141
	v_fma_f16 v158, v82, s5, v157
	v_sub_f16_e32 v82, v168, v177
	v_fma_f16 v157, v80, s5, -v156
	v_add_f16_e32 v81, v169, v178
	v_add_f16_e32 v85, v157, v85
	v_mul_f16_e32 v157, 0xbbeb, v82
	v_fma_f16 v156, v80, s5, v156
	v_add_f16_e32 v84, v156, v84
	v_fma_f16 v156, v81, s5, -v157
	v_add_f16_e32 v86, v156, v86
	v_mul_f16_e32 v156, 0x3482, v83
	v_add_f16_e32 v153, v158, v153
	v_fma_f16 v158, v81, s5, v157
	v_fma_f16 v157, v80, s16, -v156
	v_add_f16_e32 v133, v157, v133
	v_mul_f16_e32 v157, 0x3482, v82
	v_fma_f16 v156, v80, s16, v156
	v_add_f16_e32 v95, v156, v95
	v_fma_f16 v156, v81, s16, -v157
	v_add_f16_e32 v134, v156, v134
	v_mul_f16_e32 v156, 0x3b47, v83
	v_add_f16_e32 v94, v158, v94
	v_fma_f16 v158, v81, s16, v157
	v_fma_f16 v157, v80, s4, -v156
	;; [unrolled: 10-line block ×3, first 2 shown]
	v_add_f16_e32 v145, v157, v145
	v_mul_f16_e32 v157, 0xb853, v82
	v_fma_f16 v156, v80, s12, v156
	v_add_f16_e32 v142, v156, v142
	v_fma_f16 v156, v81, s12, -v157
	v_mul_f16_e32 v83, 0xba0c, v83
	v_add_f16_e32 v146, v156, v146
	v_fma_f16 v156, v80, s13, -v83
	v_mul_f16_e32 v82, 0xba0c, v82
	v_fma_f16 v80, v80, s13, v83
	v_add_f16_e32 v141, v158, v141
	v_fma_f16 v158, v81, s12, v157
	v_add_f16_e32 v154, v156, v154
	v_fma_f16 v156, v81, s13, v82
	v_add_f16_e32 v78, v80, v78
	v_fma_f16 v80, v81, s13, -v82
	v_add_f16_e32 v81, v171, v79
	v_sub_f16_e32 v79, v171, v79
	v_add_f16_e32 v47, v80, v47
	v_add_f16_e32 v80, v170, v176
	v_mul_f16_e32 v83, 0xba0c, v79
	v_add_f16_e32 v155, v156, v155
	v_sub_f16_e32 v82, v170, v176
	v_fma_f16 v156, v80, s13, -v83
	v_add_f16_e32 v85, v156, v85
	v_mul_f16_e32 v156, 0xba0c, v82
	v_fma_f16 v83, v80, s13, v83
	v_add_f16_e32 v83, v83, v84
	v_fma_f16 v84, v81, s13, -v156
	v_add_f16_e32 v84, v84, v86
	v_mul_f16_e32 v86, 0x3beb, v79
	v_fma_f16 v157, v81, s13, v156
	v_fma_f16 v156, v80, s5, -v86
	v_add_f16_e32 v133, v156, v133
	v_mul_f16_e32 v156, 0x3beb, v82
	v_fma_f16 v86, v80, s5, v86
	v_add_f16_e32 v86, v86, v95
	v_fma_f16 v95, v81, s5, -v156
	v_add_f16_e32 v95, v95, v134
	v_mul_f16_e32 v134, 0xb853, v79
	v_add_f16_e32 v94, v157, v94
	v_fma_f16 v157, v81, s5, v156
	v_fma_f16 v156, v80, s12, -v134
	v_add_f16_e32 v137, v156, v137
	v_mul_f16_e32 v156, 0xb853, v82
	v_fma_f16 v134, v80, s12, v134
	v_add_f16_e32 v134, v134, v136
	v_fma_f16 v136, v81, s12, -v156
	v_add_f16_e32 v136, v136, v140
	v_mul_f16_e32 v140, 0xb482, v79
	v_add_f16_e32 v135, v157, v135
	v_fma_f16 v157, v81, s12, v156
	v_fma_f16 v156, v80, s16, -v140
	v_add_f16_e32 v145, v156, v145
	v_mul_f16_e32 v156, 0xb482, v82
	v_fma_f16 v140, v80, s16, v140
	v_add_f16_e32 v140, v140, v142
	v_fma_f16 v142, v81, s16, -v156
	v_mul_f16_e32 v79, 0x3b47, v79
	v_add_f16_e32 v142, v142, v146
	v_fma_f16 v146, v80, s4, -v79
	v_mul_f16_e32 v82, 0x3b47, v82
	v_add_f16_e32 v146, v146, v154
	v_fma_f16 v154, v81, s4, v82
	v_fma_f16 v79, v80, s4, v79
	v_add_f16_e32 v153, v158, v153
	v_add_f16_e32 v141, v157, v141
	v_fma_f16 v157, v81, s16, v156
	v_add_f16_e32 v154, v154, v155
	v_add_f16_e32 v155, v79, v78
	v_fma_f16 v78, v81, s4, -v82
	v_sub_f16_e32 v160, v173, v175
	v_add_f16_e32 v153, v157, v153
	v_add_f16_e32 v156, v78, v47
	;; [unrolled: 1-line block ×3, first 2 shown]
	v_mul_f16_e32 v47, 0xb482, v160
	v_sub_f16_e32 v159, v172, v174
	v_fma_f16 v78, v157, s16, -v47
	v_mul_f16_e32 v81, 0x3853, v160
	v_add_f16_e32 v158, v173, v175
	v_add_f16_e32 v79, v78, v85
	v_mul_f16_e32 v78, 0xb482, v159
	v_fma_f16 v47, v157, s16, v47
	v_fma_f16 v82, v157, s12, -v81
	v_fma_f16 v81, v157, s12, v81
	v_mul_f16_e32 v85, 0xba0c, v160
	v_fma_f16 v80, v158, s16, v78
	v_add_f16_e32 v47, v47, v83
	v_fma_f16 v78, v158, s16, -v78
	v_add_f16_e32 v83, v82, v133
	v_mul_f16_e32 v82, 0x3853, v159
	v_add_f16_e32 v81, v81, v86
	v_fma_f16 v86, v157, s13, -v85
	v_add_f16_e32 v80, v80, v94
	v_add_f16_e32 v78, v78, v84
	v_fma_f16 v84, v158, s12, v82
	v_fma_f16 v82, v158, s12, -v82
	v_add_f16_e32 v94, v86, v137
	v_mul_f16_e32 v86, 0xba0c, v159
	v_add_f16_e32 v82, v82, v95
	v_fma_f16 v95, v158, s13, v86
	v_add_f16_e32 v95, v95, v141
	v_mul_f16_e32 v141, 0xbbeb, v160
	v_fma_f16 v137, v157, s5, -v141
	v_add_f16_e32 v137, v137, v146
	v_add_f16_sdwa v146, v48, v182 dst_sel:DWORD dst_unused:UNUSED_PAD src0_sel:WORD_1 src1_sel:DWORD
	v_add_f16_e32 v146, v146, v184
	v_add_f16_e32 v146, v146, v186
	;; [unrolled: 1-line block ×3, first 2 shown]
	v_fma_f16 v86, v158, s13, -v86
	v_add_f16_e32 v146, v146, v139
	v_fma_f16 v85, v157, s13, v85
	v_add_f16_e32 v86, v86, v136
	v_mul_f16_e32 v136, 0x3b47, v159
	v_add_f16_e32 v146, v146, v144
	v_add_f16_e32 v84, v84, v135
	;; [unrolled: 1-line block ×3, first 2 shown]
	v_mul_f16_e32 v134, 0x3b47, v160
	v_fma_f16 v135, v158, s4, v136
	v_fma_f16 v136, v158, s4, -v136
	v_add_f16_e32 v146, v146, v150
	v_fma_f16 v133, v157, s4, -v134
	v_fma_f16 v134, v157, s4, v134
	v_add_f16_e32 v136, v136, v142
	v_mul_f16_e32 v142, 0xbbeb, v159
	v_add_f16_e32 v146, v146, v188
	v_add_f16_e32 v46, v46, v166
	;; [unrolled: 1-line block ×3, first 2 shown]
	v_fma_f16 v140, v158, s5, v142
	v_fma_f16 v141, v157, s5, v141
	v_add_f16_e32 v146, v146, v151
	v_add_f16_e32 v46, v46, v168
	;; [unrolled: 1-line block ×4, first 2 shown]
	v_fma_f16 v142, v158, s5, -v142
	v_add_f16_e32 v146, v146, v152
	v_add_f16_e32 v154, v182, v152
	v_sub_f16_e32 v155, v181, v190
	v_sub_f16_e32 v152, v182, v152
	v_add_f16_e32 v46, v46, v170
	v_add_f16_e32 v135, v135, v153
	;; [unrolled: 1-line block ×4, first 2 shown]
	v_mul_f16_e32 v156, 0xb853, v152
	v_mul_f16_e32 v158, 0xb853, v155
	;; [unrolled: 1-line block ×10, first 2 shown]
	v_add_f16_e32 v46, v46, v172
	v_fma_f16 v157, v153, s12, -v156
	v_fma_f16 v159, v154, s12, v158
	v_fma_f16 v156, v153, s12, v156
	v_fma_f16 v158, v154, s12, -v158
	v_fma_f16 v161, v153, s4, -v160
	v_fma_f16 v163, v154, s4, v162
	v_fma_f16 v160, v153, s4, v160
	v_fma_f16 v162, v154, s4, -v162
	;; [unrolled: 4-line block ×5, first 2 shown]
	v_add_f16_e32 v154, v184, v151
	v_sub_f16_e32 v151, v184, v151
	v_add_f16_e32 v46, v46, v174
	v_add_f16_e32 v133, v133, v145
	;; [unrolled: 1-line block ×4, first 2 shown]
	v_add_f16_sdwa v159, v48, v159 dst_sel:DWORD dst_unused:UNUSED_PAD src0_sel:WORD_1 src1_sel:DWORD
	v_add_f16_e32 v156, v48, v156
	v_add_f16_sdwa v158, v48, v158 dst_sel:DWORD dst_unused:UNUSED_PAD src0_sel:WORD_1 src1_sel:DWORD
	v_add_f16_e32 v161, v48, v161
	;; [unrolled: 2-line block ×10, first 2 shown]
	v_mul_f16_e32 v174, 0xbb47, v151
	v_sub_f16_e32 v155, v183, v189
	v_fma_f16 v175, v153, s4, -v174
	v_add_f16_e32 v157, v175, v157
	v_mul_f16_e32 v175, 0xbb47, v155
	v_fma_f16 v174, v153, s4, v174
	v_add_f16_e32 v156, v174, v156
	v_fma_f16 v174, v154, s4, -v175
	v_add_f16_e32 v158, v174, v158
	v_mul_f16_e32 v174, 0xba0c, v151
	v_add_f16_e32 v46, v46, v176
	v_fma_f16 v176, v154, s4, v175
	v_fma_f16 v175, v153, s13, -v174
	v_add_f16_e32 v161, v175, v161
	v_mul_f16_e32 v175, 0xba0c, v155
	v_fma_f16 v174, v153, s13, v174
	v_add_f16_e32 v160, v174, v160
	v_fma_f16 v174, v154, s13, -v175
	v_add_f16_e32 v162, v174, v162
	v_mul_f16_e32 v174, 0x3482, v151
	v_add_f16_e32 v159, v176, v159
	v_fma_f16 v176, v154, s13, v175
	;; [unrolled: 10-line block ×3, first 2 shown]
	v_fma_f16 v175, v153, s5, -v174
	v_add_f16_e32 v169, v175, v169
	v_mul_f16_e32 v175, 0x3beb, v155
	v_fma_f16 v174, v153, s5, v174
	v_add_f16_e32 v168, v174, v168
	v_fma_f16 v174, v154, s5, -v175
	v_mul_f16_e32 v151, 0x3853, v151
	v_add_f16_e32 v170, v174, v170
	v_fma_f16 v174, v153, s12, -v151
	v_mul_f16_e32 v155, 0x3853, v155
	v_fma_f16 v151, v153, s12, v151
	v_add_f16_e32 v172, v174, v172
	v_fma_f16 v174, v154, s12, v155
	v_add_f16_e32 v151, v151, v152
	v_fma_f16 v152, v154, s12, -v155
	v_sub_f16_e32 v155, v186, v188
	v_add_f16_e32 v173, v174, v173
	v_add_f16_e32 v48, v152, v48
	;; [unrolled: 1-line block ×3, first 2 shown]
	v_mul_f16_e32 v174, 0xbbeb, v155
	v_add_f16_e32 v167, v176, v167
	v_fma_f16 v176, v154, s5, v175
	v_sub_f16_e32 v154, v185, v187
	v_fma_f16 v175, v152, s5, -v174
	v_add_f16_e32 v153, v186, v188
	v_add_f16_e32 v157, v175, v157
	v_mul_f16_e32 v175, 0xbbeb, v154
	v_fma_f16 v174, v152, s5, v174
	v_add_f16_e32 v156, v174, v156
	v_fma_f16 v174, v153, s5, -v175
	v_add_f16_e32 v158, v174, v158
	v_mul_f16_e32 v174, 0x3482, v155
	v_add_f16_e32 v171, v176, v171
	v_fma_f16 v176, v153, s5, v175
	v_fma_f16 v175, v152, s16, -v174
	v_add_f16_e32 v161, v175, v161
	v_mul_f16_e32 v175, 0x3482, v154
	v_fma_f16 v174, v152, s16, v174
	v_add_f16_e32 v160, v174, v160
	v_fma_f16 v174, v153, s16, -v175
	v_add_f16_e32 v162, v174, v162
	v_mul_f16_e32 v174, 0x3b47, v155
	v_add_f16_e32 v159, v176, v159
	v_fma_f16 v176, v153, s16, v175
	v_fma_f16 v175, v152, s4, -v174
	v_add_f16_e32 v165, v175, v165
	v_mul_f16_e32 v175, 0x3b47, v154
	v_fma_f16 v174, v152, s4, v174
	v_add_f16_e32 v164, v174, v164
	v_fma_f16 v174, v153, s4, -v175
	v_add_f16_e32 v166, v174, v166
	v_mul_f16_e32 v174, 0xb853, v155
	v_add_f16_e32 v145, v145, v183
	v_add_f16_e32 v163, v176, v163
	v_fma_f16 v176, v153, s4, v175
	v_fma_f16 v175, v152, s12, -v174
	v_add_f16_e32 v145, v145, v185
	v_add_f16_e32 v169, v175, v169
	v_mul_f16_e32 v175, 0xb853, v154
	v_fma_f16 v174, v152, s12, v174
	v_add_f16_e32 v145, v145, v147
	v_add_f16_e32 v168, v174, v168
	v_fma_f16 v174, v153, s12, -v175
	v_mul_f16_e32 v155, 0xba0c, v155
	v_add_f16_e32 v145, v145, v138
	v_add_f16_e32 v170, v174, v170
	v_fma_f16 v174, v152, s13, -v155
	v_mul_f16_e32 v154, 0xba0c, v154
	v_fma_f16 v152, v152, s13, v155
	v_add_f16_e32 v145, v145, v143
	v_add_f16_e32 v167, v176, v167
	v_fma_f16 v176, v153, s12, v175
	v_add_f16_e32 v172, v174, v172
	v_fma_f16 v174, v153, s13, v154
	v_add_f16_e32 v151, v152, v151
	v_fma_f16 v152, v153, s13, -v154
	v_add_f16_e32 v153, v148, v150
	v_sub_f16_e32 v148, v148, v150
	v_add_f16_e32 v145, v145, v149
	v_add_f16_e32 v48, v152, v48
	;; [unrolled: 1-line block ×3, first 2 shown]
	v_sub_f16_e32 v147, v147, v149
	v_mul_f16_e32 v149, 0xba0c, v148
	v_fma_f16 v150, v152, s13, -v149
	v_fma_f16 v149, v152, s13, v149
	v_mul_f16_e32 v154, 0xba0c, v147
	v_add_f16_e32 v149, v149, v156
	v_mul_f16_e32 v156, 0x3beb, v148
	v_add_f16_e32 v150, v150, v157
	v_fma_f16 v155, v153, s13, v154
	v_fma_f16 v154, v153, s13, -v154
	v_fma_f16 v157, v152, s5, -v156
	v_fma_f16 v156, v152, s5, v156
	v_add_f16_e32 v154, v154, v158
	v_mul_f16_e32 v158, 0x3beb, v147
	v_add_f16_e32 v156, v156, v160
	v_mul_f16_e32 v160, 0xb853, v148
	v_add_f16_e32 v155, v155, v159
	v_add_f16_e32 v157, v157, v161
	v_fma_f16 v159, v153, s5, v158
	v_fma_f16 v158, v153, s5, -v158
	v_fma_f16 v161, v152, s12, -v160
	v_fma_f16 v160, v152, s12, v160
	v_add_f16_e32 v158, v158, v162
	v_mul_f16_e32 v162, 0xb853, v147
	v_add_f16_e32 v160, v160, v164
	v_mul_f16_e32 v164, 0xb482, v148
	v_add_f16_e32 v159, v159, v163
	v_add_f16_e32 v161, v161, v165
	v_fma_f16 v163, v153, s12, v162
	v_fma_f16 v162, v153, s12, -v162
	v_fma_f16 v165, v152, s16, -v164
	v_fma_f16 v164, v152, s16, v164
	v_mul_f16_e32 v148, 0x3b47, v148
	v_add_f16_e32 v162, v162, v166
	v_mul_f16_e32 v166, 0xb482, v147
	v_add_f16_e32 v164, v164, v168
	v_fma_f16 v168, v152, s4, -v148
	v_mul_f16_e32 v147, 0x3b47, v147
	v_fma_f16 v148, v152, s4, v148
	v_add_f16_e32 v165, v165, v169
	v_fma_f16 v169, v153, s4, v147
	v_add_f16_e32 v148, v148, v151
	v_fma_f16 v147, v153, s4, -v147
	v_add_f16_e32 v151, v139, v144
	v_sub_f16_e32 v139, v139, v144
	v_add_f16_e32 v48, v147, v48
	v_add_f16_e32 v147, v138, v143
	v_sub_f16_e32 v138, v138, v143
	v_mul_f16_e32 v143, 0xb482, v139
	v_fma_f16 v144, v147, s16, -v143
	v_add_f16_e32 v144, v144, v150
	v_mul_f16_e32 v150, 0xb482, v138
	v_fma_f16 v143, v147, s16, v143
	v_fma_f16 v152, v151, s16, v150
	v_add_f16_e32 v143, v143, v149
	v_fma_f16 v149, v151, s16, -v150
	v_mul_f16_e32 v150, 0x3853, v139
	v_add_f16_e32 v163, v163, v167
	v_fma_f16 v167, v153, s16, v166
	v_fma_f16 v166, v153, s16, -v166
	v_add_f16_e32 v149, v149, v154
	v_fma_f16 v153, v147, s12, -v150
	v_mul_f16_e32 v154, 0x3853, v138
	v_fma_f16 v150, v147, s12, v150
	v_add_f16_e32 v152, v152, v155
	v_fma_f16 v155, v151, s12, v154
	v_add_f16_e32 v150, v150, v156
	v_fma_f16 v154, v151, s12, -v154
	v_mul_f16_e32 v156, 0xba0c, v139
	v_add_f16_e32 v153, v153, v157
	v_add_f16_e32 v154, v154, v158
	v_fma_f16 v157, v147, s13, -v156
	v_mul_f16_e32 v158, 0xba0c, v138
	v_fma_f16 v156, v147, s13, v156
	v_add_f16_e32 v155, v155, v159
	v_fma_f16 v159, v151, s13, v158
	v_add_f16_e32 v156, v156, v160
	v_fma_f16 v158, v151, s13, -v158
	v_mul_f16_e32 v160, 0x3b47, v139
	v_add_f16_e32 v157, v157, v161
	v_add_f16_e32 v158, v158, v162
	v_fma_f16 v161, v147, s4, -v160
	v_mul_f16_e32 v162, 0x3b47, v138
	v_mul_f16_e32 v138, 0xbbeb, v138
	v_add_f16_e32 v161, v161, v165
	v_fma_f16 v165, v151, s5, v138
	v_fma_f16 v138, v151, s5, -v138
	v_fma_f16 v160, v147, s4, v160
	v_mul_f16_e32 v139, 0xbbeb, v139
	v_add_f16_e32 v48, v138, v48
	v_add_f16_e32 v138, v45, v76
	;; [unrolled: 1-line block ×3, first 2 shown]
	v_fma_f16 v164, v147, s5, -v139
	v_fma_f16 v139, v147, s5, v139
	v_add_f16_sdwa v147, v45, v77 dst_sel:DWORD dst_unused:UNUSED_PAD src0_sel:WORD_1 src1_sel:DWORD
	v_add_f16_e32 v138, v138, v72
	v_add_f16_e32 v147, v147, v73
	;; [unrolled: 1-line block ×19, first 2 shown]
	v_fma_f16 v163, v151, s4, v162
	v_fma_f16 v162, v151, s4, -v162
	v_add_f16_e32 v139, v139, v148
	v_add_f16_e32 v147, v147, v71
	;; [unrolled: 1-line block ×5, first 2 shown]
	v_sub_f16_e32 v76, v76, v96
	v_sub_f16_e32 v77, v77, v98
	v_add_f16_e32 v46, v46, v179
	v_add_f16_e32 v167, v167, v171
	v_add_f16_e32 v169, v169, v173
	v_add_f16_e32 v162, v162, v166
	v_add_f16_e32 v164, v164, v168
	v_add_f16_e32 v147, v147, v75
	v_add_f16_e32 v138, v138, v96
	v_mul_f16_e32 v96, 0xb853, v77
	v_mul_f16_e32 v166, 0xb853, v76
	;; [unrolled: 1-line block ×10, first 2 shown]
	v_add_f16_e32 v46, v46, v180
	v_add_f16_e32 v163, v163, v167
	;; [unrolled: 1-line block ×4, first 2 shown]
	v_fma_f16 v98, v148, s12, -v96
	v_fma_f16 v167, v151, s12, v166
	v_fma_f16 v96, v148, s12, v96
	v_fma_f16 v166, v151, s12, -v166
	v_fma_f16 v169, v148, s4, -v168
	v_fma_f16 v171, v151, s4, v170
	v_fma_f16 v168, v148, s4, v168
	v_fma_f16 v170, v151, s4, -v170
	;; [unrolled: 4-line block ×5, first 2 shown]
	v_add_f16_e32 v148, v73, v75
	v_sub_f16_e32 v73, v73, v75
	v_add_f16_e32 v98, v45, v98
	v_add_f16_sdwa v167, v45, v167 dst_sel:DWORD dst_unused:UNUSED_PAD src0_sel:WORD_1 src1_sel:DWORD
	v_add_f16_e32 v96, v45, v96
	v_add_f16_sdwa v166, v45, v166 dst_sel:DWORD dst_unused:UNUSED_PAD src0_sel:WORD_1 src1_sel:DWORD
	v_add_f16_e32 v169, v45, v169
	v_add_f16_sdwa v171, v45, v171 dst_sel:DWORD dst_unused:UNUSED_PAD src0_sel:WORD_1 src1_sel:DWORD
	v_add_f16_e32 v168, v45, v168
	v_add_f16_sdwa v170, v45, v170 dst_sel:DWORD dst_unused:UNUSED_PAD src0_sel:WORD_1 src1_sel:DWORD
	v_add_f16_e32 v173, v45, v173
	v_add_f16_sdwa v175, v45, v175 dst_sel:DWORD dst_unused:UNUSED_PAD src0_sel:WORD_1 src1_sel:DWORD
	v_add_f16_e32 v172, v45, v172
	v_add_f16_sdwa v174, v45, v174 dst_sel:DWORD dst_unused:UNUSED_PAD src0_sel:WORD_1 src1_sel:DWORD
	v_add_f16_e32 v177, v45, v177
	v_add_f16_sdwa v179, v45, v179 dst_sel:DWORD dst_unused:UNUSED_PAD src0_sel:WORD_1 src1_sel:DWORD
	v_add_f16_e32 v176, v45, v176
	v_add_f16_sdwa v178, v45, v178 dst_sel:DWORD dst_unused:UNUSED_PAD src0_sel:WORD_1 src1_sel:DWORD
	v_add_f16_e32 v180, v45, v180
	v_add_f16_sdwa v181, v45, v181 dst_sel:DWORD dst_unused:UNUSED_PAD src0_sel:WORD_1 src1_sel:DWORD
	v_add_f16_e32 v77, v45, v77
	v_add_f16_sdwa v45, v45, v76 dst_sel:DWORD dst_unused:UNUSED_PAD src0_sel:WORD_1 src1_sel:DWORD
	v_add_f16_e32 v76, v72, v74
	v_sub_f16_e32 v72, v72, v74
	v_mul_f16_e32 v74, 0xbb47, v73
	v_fma_f16 v75, v76, s4, -v74
	v_add_f16_e32 v75, v75, v98
	v_mul_f16_e32 v98, 0xbb47, v72
	v_fma_f16 v74, v76, s4, v74
	v_fma_f16 v151, v148, s4, v98
	v_add_f16_e32 v74, v74, v96
	v_fma_f16 v96, v148, s4, -v98
	v_mul_f16_e32 v98, 0xba0c, v73
	v_add_f16_e32 v151, v151, v167
	v_add_f16_e32 v96, v96, v166
	v_fma_f16 v166, v76, s13, -v98
	v_mul_f16_e32 v167, 0xba0c, v72
	v_fma_f16 v98, v76, s13, v98
	v_add_f16_e32 v166, v166, v169
	v_fma_f16 v169, v148, s13, v167
	v_add_f16_e32 v98, v98, v168
	v_fma_f16 v167, v148, s13, -v167
	v_mul_f16_e32 v168, 0x3482, v73
	v_add_f16_e32 v169, v169, v171
	v_add_f16_e32 v167, v167, v170
	v_fma_f16 v170, v76, s16, -v168
	v_mul_f16_e32 v171, 0x3482, v72
	v_fma_f16 v168, v76, s16, v168
	v_add_f16_e32 v170, v170, v173
	v_fma_f16 v173, v148, s16, v171
	v_add_f16_e32 v168, v168, v172
	v_fma_f16 v171, v148, s16, -v171
	v_mul_f16_e32 v172, 0x3beb, v73
	v_add_f16_e32 v173, v173, v175
	v_add_f16_e32 v171, v171, v174
	v_fma_f16 v174, v76, s5, -v172
	v_mul_f16_e32 v175, 0x3beb, v72
	v_add_f16_e32 v174, v174, v177
	v_fma_f16 v177, v148, s5, v175
	v_fma_f16 v172, v76, s5, v172
	v_fma_f16 v175, v148, s5, -v175
	v_mul_f16_e32 v73, 0x3853, v73
	v_mul_f16_e32 v72, 0x3853, v72
	v_add_f16_e32 v172, v172, v176
	v_add_f16_e32 v175, v175, v178
	v_fma_f16 v176, v76, s12, -v73
	v_fma_f16 v178, v148, s12, v72
	v_fma_f16 v73, v76, s12, v73
	v_fma_f16 v72, v148, s12, -v72
	v_add_f16_e32 v76, v69, v71
	v_sub_f16_e32 v69, v69, v71
	v_add_f16_e32 v45, v72, v45
	v_add_f16_e32 v72, v68, v70
	v_sub_f16_e32 v68, v68, v70
	v_mul_f16_e32 v70, 0xbbeb, v69
	v_fma_f16 v71, v72, s5, -v70
	v_add_f16_e32 v71, v71, v75
	v_mul_f16_e32 v75, 0xbbeb, v68
	v_fma_f16 v70, v72, s5, v70
	v_add_f16_e32 v73, v73, v77
	v_fma_f16 v77, v76, s5, v75
	v_add_f16_e32 v70, v70, v74
	v_fma_f16 v74, v76, s5, -v75
	v_mul_f16_e32 v75, 0x3482, v69
	v_add_f16_e32 v74, v74, v96
	v_fma_f16 v96, v72, s16, -v75
	v_mul_f16_e32 v148, 0x3482, v68
	v_fma_f16 v75, v72, s16, v75
	v_add_f16_e32 v77, v77, v151
	v_fma_f16 v151, v76, s16, v148
	v_add_f16_e32 v75, v75, v98
	v_fma_f16 v98, v76, s16, -v148
	v_mul_f16_e32 v148, 0x3b47, v69
	v_add_f16_e32 v96, v96, v166
	v_add_f16_e32 v98, v98, v167
	v_fma_f16 v166, v72, s4, -v148
	v_mul_f16_e32 v167, 0x3b47, v68
	v_fma_f16 v148, v72, s4, v148
	v_add_f16_e32 v151, v151, v169
	v_fma_f16 v169, v76, s4, v167
	v_add_f16_e32 v148, v148, v168
	v_fma_f16 v167, v76, s4, -v167
	v_mul_f16_e32 v168, 0xb853, v69
	v_add_f16_e32 v166, v166, v170
	v_add_f16_e32 v167, v167, v171
	v_fma_f16 v170, v72, s12, -v168
	v_mul_f16_e32 v171, 0xb853, v68
	v_fma_f16 v168, v72, s12, v168
	v_mul_f16_e32 v69, 0xba0c, v69
	v_mul_f16_e32 v68, 0xba0c, v68
	v_add_f16_e32 v170, v170, v174
	v_add_f16_e32 v168, v168, v172
	v_fma_f16 v172, v72, s13, -v69
	v_fma_f16 v174, v76, s13, v68
	v_fma_f16 v69, v72, s13, v69
	v_fma_f16 v68, v76, s13, -v68
	v_add_f16_e32 v72, v64, v67
	v_sub_f16_e32 v64, v64, v67
	v_add_f16_e32 v45, v68, v45
	v_add_f16_e32 v68, v62, v66
	v_sub_f16_e32 v62, v62, v66
	v_mul_f16_e32 v66, 0xba0c, v64
	v_fma_f16 v67, v68, s13, -v66
	v_add_f16_e32 v67, v67, v71
	v_mul_f16_e32 v71, 0xba0c, v62
	v_fma_f16 v66, v68, s13, v66
	v_add_f16_e32 v69, v69, v73
	v_fma_f16 v73, v72, s13, v71
	v_add_f16_e32 v66, v66, v70
	v_fma_f16 v70, v72, s13, -v71
	v_mul_f16_e32 v71, 0x3beb, v64
	v_add_f16_e32 v169, v169, v173
	v_fma_f16 v173, v76, s12, v171
	v_fma_f16 v171, v76, s12, -v171
	v_add_f16_e32 v70, v70, v74
	v_fma_f16 v74, v68, s5, -v71
	v_mul_f16_e32 v76, 0x3beb, v62
	v_fma_f16 v71, v68, s5, v71
	v_add_f16_e32 v73, v73, v77
	v_fma_f16 v77, v72, s5, v76
	v_add_f16_e32 v71, v71, v75
	v_fma_f16 v75, v72, s5, -v76
	v_mul_f16_e32 v76, 0xb853, v64
	v_add_f16_e32 v74, v74, v96
	v_add_f16_e32 v75, v75, v98
	v_fma_f16 v96, v68, s12, -v76
	v_mul_f16_e32 v98, 0xb853, v62
	v_fma_f16 v76, v68, s12, v76
	v_add_f16_e32 v77, v77, v151
	v_fma_f16 v151, v72, s12, v98
	v_add_f16_e32 v76, v76, v148
	v_fma_f16 v98, v72, s12, -v98
	v_mul_f16_e32 v148, 0xb482, v64
	v_add_f16_e32 v96, v96, v166
	v_add_f16_e32 v98, v98, v167
	v_fma_f16 v166, v68, s16, -v148
	v_mul_f16_e32 v167, 0xb482, v62
	v_fma_f16 v148, v68, s16, v148
	v_mul_f16_e32 v64, 0x3b47, v64
	v_mul_f16_e32 v62, 0x3b47, v62
	v_pack_b32_f16 v46, v46, v52
	v_pack_b32_f16 v52, v79, v80
	v_add_f16_e32 v166, v166, v170
	v_add_f16_e32 v148, v148, v168
	v_fma_f16 v168, v68, s4, -v64
	v_fma_f16 v170, v72, s4, v62
	v_fma_f16 v64, v68, s4, v64
	v_fma_f16 v62, v72, s4, -v62
	v_add_f16_e32 v68, v56, v60
	v_sub_f16_e32 v56, v56, v60
	s_waitcnt lgkmcnt(0)
	; wave barrier
	ds_write2_b32 v99, v46, v52 offset1:51
	v_pack_b32_f16 v46, v83, v84
	v_pack_b32_f16 v52, v94, v95
	v_add_f16_e32 v145, v145, v187
	v_add_f16_e32 v45, v62, v45
	;; [unrolled: 1-line block ×3, first 2 shown]
	v_sub_f16_e32 v54, v54, v58
	v_mul_f16_e32 v58, 0xb482, v56
	ds_write2_b32 v99, v46, v52 offset0:102 offset1:153
	v_pack_b32_f16 v46, v133, v135
	v_pack_b32_f16 v52, v137, v140
	v_add_f16_e32 v145, v145, v189
	v_fma_f16 v60, v62, s16, -v58
	ds_write2_b32 v99, v46, v52 offset0:204 offset1:255
	v_pack_b32_f16 v46, v141, v142
	v_pack_b32_f16 v52, v134, v136
	v_add_f16_e32 v145, v145, v190
	v_add_f16_e32 v60, v60, v67
	v_mul_f16_e32 v67, 0xb482, v54
	v_fma_f16 v58, v62, s16, v58
	ds_write2_b32 v91, v46, v52 offset0:50 offset1:101
	v_pack_b32_f16 v46, v85, v86
	v_pack_b32_f16 v52, v81, v82
	v_add_f16_e32 v64, v64, v69
	v_fma_f16 v69, v68, s16, v67
	v_add_f16_e32 v58, v58, v66
	v_fma_f16 v66, v68, s16, -v67
	v_mul_f16_e32 v67, 0x3853, v56
	ds_write2_b32 v91, v46, v52 offset0:152 offset1:203
	v_pack_b32_f16 v46, v47, v78
	v_pack_b32_f16 v47, v145, v146
	v_add_f16_e32 v151, v151, v169
	v_fma_f16 v169, v72, s16, v167
	v_fma_f16 v167, v72, s16, -v167
	v_add_f16_e32 v66, v66, v70
	v_fma_f16 v70, v62, s12, -v67
	v_mul_f16_e32 v72, 0x3853, v54
	v_fma_f16 v67, v62, s12, v67
	ds_write2_b32 v89, v46, v47 offset0:126 offset1:177
	v_pack_b32_f16 v46, v144, v152
	v_pack_b32_f16 v47, v153, v155
	v_add_f16_e32 v69, v69, v73
	v_fma_f16 v73, v68, s12, v72
	v_add_f16_e32 v67, v67, v71
	v_fma_f16 v71, v68, s12, -v72
	v_mul_f16_e32 v72, 0xba0c, v56
	ds_write2_b32 v87, v46, v47 offset0:100 offset1:151
	v_pack_b32_f16 v46, v157, v159
	v_pack_b32_f16 v47, v161, v163
	v_add_f16_e32 v70, v70, v74
	v_add_f16_e32 v71, v71, v75
	v_fma_f16 v74, v62, s13, -v72
	v_mul_f16_e32 v75, 0xba0c, v54
	v_fma_f16 v72, v62, s13, v72
	ds_write2_b32 v87, v46, v47 offset0:202 offset1:253
	v_pack_b32_f16 v46, v164, v165
	v_pack_b32_f16 v47, v139, v48
	v_add_f16_e32 v177, v177, v179
	v_add_f16_e32 v176, v176, v180
	;; [unrolled: 1-line block ×4, first 2 shown]
	v_fma_f16 v77, v68, s13, v75
	v_add_f16_e32 v72, v72, v76
	v_fma_f16 v75, v68, s13, -v75
	v_mul_f16_e32 v76, 0x3b47, v56
	ds_write2_b32 v90, v46, v47 offset0:48 offset1:99
	v_pack_b32_f16 v46, v160, v162
	v_pack_b32_f16 v47, v156, v158
	v_add_f16_e32 v173, v173, v177
	v_add_f16_e32 v172, v172, v176
	;; [unrolled: 1-line block ×5, first 2 shown]
	v_fma_f16 v96, v62, s4, -v76
	v_mul_f16_e32 v98, 0x3b47, v54
	v_fma_f16 v76, v62, s4, v76
	v_mul_f16_e32 v56, 0xbbeb, v56
	v_mul_f16_e32 v54, 0xbbeb, v54
	ds_write2_b32 v90, v46, v47 offset0:150 offset1:201
	v_pack_b32_f16 v46, v150, v154
	v_pack_b32_f16 v47, v143, v149
	v_lshlrev_b32_e32 v133, 2, v50
	v_add_f16_e32 v171, v171, v175
	v_add_f16_e32 v169, v169, v173
	;; [unrolled: 1-line block ×6, first 2 shown]
	v_fma_f16 v151, v68, s4, v98
	v_add_f16_e32 v76, v76, v148
	v_fma_f16 v148, v62, s5, -v56
	v_fma_f16 v166, v68, s5, v54
	ds_write2_b32 v93, v46, v47 offset0:124 offset1:175
	v_pack_b32_f16 v46, v138, v147
	v_pack_b32_f16 v47, v60, v69
	v_add_u32_e32 v48, 0x1000, v133
	v_add_f16_e32 v167, v167, v171
	v_add_f16_e32 v151, v151, v169
	v_fma_f16 v98, v68, s4, -v98
	v_add_f16_e32 v148, v148, v168
	v_add_f16_e32 v166, v166, v170
	v_fma_f16 v56, v62, s5, v56
	v_fma_f16 v54, v68, s5, -v54
	ds_write2_b32 v48, v46, v47 offset0:98 offset1:149
	v_pack_b32_f16 v46, v70, v73
	v_pack_b32_f16 v47, v74, v77
	v_add_f16_e32 v98, v98, v167
	v_add_f16_e32 v56, v56, v64
	;; [unrolled: 1-line block ×3, first 2 shown]
	ds_write2_b32 v48, v46, v47 offset0:200 offset1:251
	v_pack_b32_f16 v46, v96, v151
	v_pack_b32_f16 v47, v148, v166
	v_add_u32_e32 v48, 0x1400, v133
	ds_write2_b32 v48, v46, v47 offset0:46 offset1:97
	v_pack_b32_f16 v45, v56, v45
	v_pack_b32_f16 v46, v76, v98
	ds_write2_b32 v48, v45, v46 offset0:148 offset1:199
	v_pack_b32_f16 v45, v72, v75
	v_pack_b32_f16 v46, v67, v71
	v_add_u32_e32 v47, 0x1600, v133
	ds_write2_b32 v47, v45, v46 offset0:122 offset1:173
	v_pack_b32_f16 v45, v58, v66
	ds_write_b32 v133, v45 offset:6528
	v_lshlrev_b32_e32 v45, 3, v100
	s_waitcnt lgkmcnt(0)
	; wave barrier
	s_waitcnt lgkmcnt(0)
	global_load_dwordx2 v[45:46], v45, s[2:3] offset:2176
	v_lshlrev_b32_e32 v47, 3, v118
	global_load_dwordx2 v[47:48], v47, s[2:3] offset:2176
	ds_read2_b32 v[67:68], v99 offset1:51
	ds_read2_b32 v[81:82], v89 offset0:126 offset1:177
	ds_read2_b32 v[69:70], v88 offset0:98 offset1:149
	global_load_dwordx2 v[49:50], v49, s[2:3] offset:2176
	ds_read2_b32 v[71:72], v87 offset0:100 offset1:151
	global_load_dwordx2 v[51:52], v51, s[2:3] offset:2176
	s_waitcnt lgkmcnt(2)
	v_lshrrev_b32_e32 v98, 16, v82
	global_load_dwordx2 v[53:54], v53, s[2:3] offset:2176
	s_waitcnt lgkmcnt(1)
	v_lshrrev_b32_e32 v142, 16, v69
	;; [unrolled: 3-line block ×3, first 2 shown]
	global_load_dwordx2 v[57:58], v57, s[2:3] offset:2176
	ds_read2_b32 v[75:76], v88 offset0:200 offset1:251
	global_load_dwordx2 v[59:60], v59, s[2:3] offset:2176
	v_lshrrev_b32_e32 v147, 16, v70
	global_load_dwordx2 v[61:62], v61, s[2:3] offset:2176
	ds_read2_b32 v[77:78], v87 offset0:202 offset1:253
	global_load_dwordx2 v[63:64], v63, s[2:3] offset:2176
	v_lshrrev_b32_e32 v149, 16, v72
	global_load_dwordx2 v[65:66], v65, s[2:3] offset:2176
	s_waitcnt lgkmcnt(1)
	v_lshrrev_b32_e32 v150, 16, v75
	s_waitcnt lgkmcnt(0)
	v_lshrrev_b32_e32 v152, 16, v77
	ds_read2_b32 v[83:84], v97 offset0:46 offset1:97
	v_lshrrev_b32_e32 v153, 16, v76
	ds_read2_b32 v[85:86], v90 offset0:48 offset1:99
	;; [unrolled: 2-line block ×3, first 2 shown]
	s_waitcnt lgkmcnt(2)
	v_lshrrev_b32_e32 v156, 16, v83
	v_lshrrev_b32_e32 v159, 16, v84
	s_waitcnt lgkmcnt(1)
	v_lshrrev_b32_e32 v158, 16, v85
	ds_read2_b32 v[136:137], v90 offset0:150 offset1:201
	v_lshrrev_b32_e32 v161, 16, v86
	s_waitcnt lgkmcnt(1)
	v_lshrrev_b32_e32 v162, 16, v134
	ds_read2_b32 v[138:139], v92 offset0:122 offset1:173
	;; [unrolled: 4-line block ×3, first 2 shown]
	v_lshrrev_b32_e32 v167, 16, v137
	s_waitcnt lgkmcnt(1)
	v_lshrrev_b32_e32 v168, 16, v138
	ds_read_b32 v170, v99 offset:6528
	v_lshrrev_b32_e32 v172, 16, v139
	s_waitcnt lgkmcnt(1)
	v_lshrrev_b32_e32 v171, 16, v140
	v_lshrrev_b32_e32 v174, 16, v141
	;; [unrolled: 1-line block ×3, first 2 shown]
	s_waitcnt lgkmcnt(0)
	v_lshrrev_b32_e32 v175, 16, v170
	ds_read2_b32 v[73:74], v99 offset0:102 offset1:153
	v_lshrrev_b32_e32 v145, 16, v68
	ds_read2_b32 v[79:80], v99 offset0:204 offset1:255
	ds_read2_b32 v[94:95], v91 offset0:50 offset1:101
	;; [unrolled: 1-line block ×3, first 2 shown]
	s_waitcnt lgkmcnt(3)
	v_lshrrev_b32_e32 v148, 16, v73
	v_lshrrev_b32_e32 v151, 16, v74
	s_waitcnt lgkmcnt(2)
	v_lshrrev_b32_e32 v154, 16, v79
	v_lshrrev_b32_e32 v157, 16, v80
	;; [unrolled: 3-line block ×4, first 2 shown]
	v_lshrrev_b32_e32 v173, 16, v81
	s_add_u32 s4, s6, 0x1a4c
	s_addc_u32 s5, s7, 0
	s_movk_i32 s2, 0x1000
	s_waitcnt vmcnt(10)
	v_mul_f16_sdwa v176, v98, v45 dst_sel:DWORD dst_unused:UNUSED_PAD src0_sel:DWORD src1_sel:WORD_1
	v_fma_f16 v176, v82, v45, -v176
	v_mul_f16_sdwa v82, v82, v45 dst_sel:DWORD dst_unused:UNUSED_PAD src0_sel:DWORD src1_sel:WORD_1
	v_fma_f16 v82, v98, v45, v82
	v_mul_f16_sdwa v98, v142, v46 dst_sel:DWORD dst_unused:UNUSED_PAD src0_sel:DWORD src1_sel:WORD_1
	v_fma_f16 v98, v69, v46, -v98
	v_mul_f16_sdwa v69, v69, v46 dst_sel:DWORD dst_unused:UNUSED_PAD src0_sel:DWORD src1_sel:WORD_1
	v_fma_f16 v69, v142, v46, v69
	s_waitcnt vmcnt(9)
	v_mul_f16_sdwa v142, v146, v47 dst_sel:DWORD dst_unused:UNUSED_PAD src0_sel:DWORD src1_sel:WORD_1
	v_fma_f16 v142, v71, v47, -v142
	v_mul_f16_sdwa v71, v71, v47 dst_sel:DWORD dst_unused:UNUSED_PAD src0_sel:DWORD src1_sel:WORD_1
	v_fma_f16 v71, v146, v47, v71
	v_mul_f16_sdwa v146, v147, v48 dst_sel:DWORD dst_unused:UNUSED_PAD src0_sel:DWORD src1_sel:WORD_1
	v_fma_f16 v146, v70, v48, -v146
	v_mul_f16_sdwa v70, v70, v48 dst_sel:DWORD dst_unused:UNUSED_PAD src0_sel:DWORD src1_sel:WORD_1
	v_fma_f16 v70, v147, v48, v70
	;; [unrolled: 9-line block ×11, first 2 shown]
	v_add_f16_e32 v134, v67, v176
	v_add_f16_e32 v175, v134, v98
	v_add_f16_e32 v134, v176, v98
	v_fma_f16 v67, v134, -0.5, v67
	v_sub_f16_e32 v134, v82, v69
	v_fma_f16 v185, v134, s0, v67
	v_fma_f16 v186, v134, s1, v67
	v_add_f16_e32 v67, v96, v82
	v_add_f16_e32 v187, v67, v69
	v_add_f16_e32 v67, v82, v69
	v_fma_f16 v67, v67, -0.5, v96
	v_sub_f16_e32 v69, v176, v98
	v_fma_f16 v96, v69, s1, v67
	v_fma_f16 v98, v69, s0, v67
	;; [unrolled: 7-line block ×12, first 2 shown]
	v_add_f16_e32 v69, v159, v161
	v_fma_f16 v70, v69, -0.5, v94
	v_sub_f16_e32 v71, v86, v162
	v_fma_f16 v69, v71, s0, v70
	v_fma_f16 v70, v71, s1, v70
	v_add_f16_e32 v71, v160, v86
	v_add_f16_e32 v135, v71, v162
	v_add_f16_e32 v71, v86, v162
	v_fma_f16 v71, v71, -0.5, v160
	v_sub_f16_e32 v72, v159, v161
	v_fma_f16 v136, v72, s1, v71
	v_fma_f16 v137, v72, s0, v71
	v_add_f16_e32 v72, v177, v178
	v_fma_f16 v73, v72, -0.5, v95
	v_sub_f16_e32 v74, v164, v165
	v_fma_f16 v72, v74, s0, v73
	v_fma_f16 v73, v74, s1, v73
	v_add_f16_e32 v74, v163, v164
	v_add_f16_e32 v138, v74, v165
	;; [unrolled: 1-line block ×3, first 2 shown]
	v_fma_f16 v74, v74, -0.5, v163
	v_sub_f16_e32 v75, v177, v178
	v_fma_f16 v139, v75, s1, v74
	v_fma_f16 v140, v75, s0, v74
	v_add_f16_e32 v75, v179, v180
	v_fma_f16 v76, v75, -0.5, v143
	v_sub_f16_e32 v77, v167, v168
	v_fma_f16 v75, v77, s0, v76
	v_fma_f16 v76, v77, s1, v76
	v_add_f16_e32 v77, v166, v167
	v_add_f16_e32 v141, v77, v168
	;; [unrolled: 1-line block ×3, first 2 shown]
	v_fma_f16 v77, v77, -0.5, v166
	v_sub_f16_e32 v78, v179, v180
	v_add_f16_e32 v74, v143, v179
	v_fma_f16 v142, v78, s1, v77
	v_fma_f16 v143, v78, s0, v77
	v_add_f16_e32 v78, v181, v182
	v_fma_f16 v79, v78, -0.5, v144
	v_sub_f16_e32 v80, v171, v172
	v_fma_f16 v78, v80, s0, v79
	v_fma_f16 v79, v80, s1, v79
	v_add_f16_e32 v80, v169, v171
	v_add_f16_e32 v77, v144, v181
	;; [unrolled: 1-line block ×4, first 2 shown]
	v_fma_f16 v80, v80, -0.5, v169
	v_sub_f16_e32 v82, v181, v182
	v_fma_f16 v145, v82, s1, v80
	v_fma_f16 v146, v82, s0, v80
	v_add_f16_e32 v82, v183, v184
	v_fma_f16 v82, v82, -0.5, v81
	v_sub_f16_e32 v85, v174, v170
	v_add_f16_e32 v80, v81, v183
	v_fma_f16 v81, v85, s0, v82
	v_fma_f16 v82, v85, s1, v82
	v_add_f16_e32 v85, v173, v174
	v_add_f16_e32 v147, v85, v170
	;; [unrolled: 1-line block ×3, first 2 shown]
	v_fma_f16 v85, v85, -0.5, v173
	v_sub_f16_e32 v86, v183, v184
	v_add_f16_e32 v71, v95, v177
	v_fma_f16 v148, v86, s1, v85
	v_fma_f16 v149, v86, s0, v85
	v_pack_b32_f16 v85, v175, v187
	v_pack_b32_f16 v95, v176, v190
	v_add_f16_e32 v68, v94, v159
	v_pack_b32_f16 v94, v186, v98
	ds_write2_b32 v99, v85, v95 offset1:51
	v_pack_b32_f16 v95, v189, v192
	v_pack_b32_f16 v85, v188, v191
	ds_write2_b32 v88, v94, v95 offset0:98 offset1:149
	v_pack_b32_f16 v95, v194, v197
	v_pack_b32_f16 v94, v193, v196
	ds_write2_b32 v87, v85, v95 offset0:100 offset1:151
	;; [unrolled: 3-line block ×3, first 2 shown]
	v_pack_b32_f16 v94, v200, v150
	v_pack_b32_f16 v95, v201, v151
	;; [unrolled: 1-line block ×3, first 2 shown]
	ds_write2_b32 v88, v85, v95 offset0:200 offset1:251
	v_pack_b32_f16 v85, v152, v205
	ds_write2_b32 v87, v94, v83 offset0:202 offset1:253
	v_pack_b32_f16 v94, v154, v206
	v_pack_b32_f16 v83, v204, v153
	ds_write2_b32 v99, v85, v94 offset0:204 offset1:255
	v_pack_b32_f16 v85, v67, v134
	v_add_f16_e32 v68, v68, v161
	v_add_f16_e32 v71, v71, v178
	v_pack_b32_f16 v84, v155, v84
	ds_write2_b32 v97, v83, v85 offset0:46 offset1:97
	v_pack_b32_f16 v85, v69, v136
	v_pack_b32_f16 v83, v68, v135
	ds_write2_b32 v90, v84, v85 offset0:48 offset1:99
	v_pack_b32_f16 v85, v71, v138
	v_pack_b32_f16 v84, v70, v137
	ds_write2_b32 v91, v83, v85 offset0:50 offset1:101
	v_pack_b32_f16 v85, v73, v140
	v_add_f16_e32 v74, v74, v180
	v_add_f16_e32 v77, v77, v182
	v_pack_b32_f16 v83, v72, v139
	ds_write2_b32 v97, v84, v85 offset0:148 offset1:199
	v_pack_b32_f16 v85, v75, v142
	v_pack_b32_f16 v84, v74, v141
	ds_write2_b32 v90, v83, v85 offset0:150 offset1:201
	v_pack_b32_f16 v85, v77, v144
	v_add_f16_e32 v80, v80, v184
	v_pack_b32_f16 v83, v76, v143
	ds_write2_b32 v91, v84, v85 offset0:152 offset1:203
	v_pack_b32_f16 v85, v79, v146
	v_pack_b32_f16 v86, v185, v96
	ds_write2_b32 v92, v83, v85 offset0:122 offset1:173
	v_pack_b32_f16 v83, v80, v147
	;; [unrolled: 3-line block ×3, first 2 shown]
	ds_write2_b32 v93, v84, v83 offset0:124 offset1:175
	v_pack_b32_f16 v83, v82, v149
	ds_write_b32 v99, v83 offset:6528
	v_lshlrev_b32_e32 v83, 2, v100
	s_waitcnt lgkmcnt(0)
	; wave barrier
	s_waitcnt lgkmcnt(0)
	global_load_dword v84, v83, s[4:5]
	global_load_dword v96, v83, s[4:5] offset:396
	global_load_dword v98, v83, s[4:5] offset:792
	;; [unrolled: 1-line block ×9, first 2 shown]
	ds_read2_b32 v[94:95], v99 offset1:99
	v_mov_b32_e32 v86, s5
	v_add_co_u32_e64 v85, s[0:1], s4, v83
	v_addc_co_u32_e64 v86, s[0:1], 0, v86, s[0:1]
	s_waitcnt lgkmcnt(0)
	v_lshrrev_b32_e32 v156, 16, v94
	s_waitcnt vmcnt(9)
	v_mul_f16_sdwa v158, v156, v84 dst_sel:DWORD dst_unused:UNUSED_PAD src0_sel:DWORD src1_sel:WORD_1
	v_fma_f16 v158, v94, v84, -v158
	v_mul_f16_sdwa v94, v94, v84 dst_sel:DWORD dst_unused:UNUSED_PAD src0_sel:DWORD src1_sel:WORD_1
	v_fma_f16 v84, v156, v84, v94
	global_load_dword v156, v83, s[4:5] offset:3960
	v_add_co_u32_e64 v83, s[0:1], s2, v85
	v_pack_b32_f16 v94, v158, v84
	v_addc_co_u32_e64 v84, s[0:1], 0, v86, s[0:1]
	global_load_dword v159, v[83:84], off offset:260
	v_lshrrev_b32_e32 v158, 16, v95
	s_waitcnt vmcnt(10)
	v_mul_f16_sdwa v160, v158, v96 dst_sel:DWORD dst_unused:UNUSED_PAD src0_sel:DWORD src1_sel:WORD_1
	v_fma_f16 v160, v95, v96, -v160
	v_mul_f16_sdwa v95, v95, v96 dst_sel:DWORD dst_unused:UNUSED_PAD src0_sel:DWORD src1_sel:WORD_1
	v_fma_f16 v95, v158, v96, v95
	global_load_dword v158, v[83:84], off offset:656
	global_load_dword v162, v[83:84], off offset:1052
	global_load_dword v163, v[83:84], off offset:1448
	v_pack_b32_f16 v95, v160, v95
	ds_write2_b32 v99, v94, v95 offset1:99
	v_add_u32_e32 v94, 0x200, v99
	ds_read2_b32 v[95:96], v94 offset0:70 offset1:169
	s_waitcnt lgkmcnt(0)
	v_lshrrev_b32_e32 v160, 16, v95
	s_waitcnt vmcnt(12)
	v_mul_f16_sdwa v161, v160, v98 dst_sel:DWORD dst_unused:UNUSED_PAD src0_sel:DWORD src1_sel:WORD_1
	v_fma_f16 v161, v95, v98, -v161
	v_mul_f16_sdwa v95, v95, v98 dst_sel:DWORD dst_unused:UNUSED_PAD src0_sel:DWORD src1_sel:WORD_1
	v_fma_f16 v95, v160, v98, v95
	v_lshrrev_b32_e32 v160, 16, v96
	v_pack_b32_f16 v98, v161, v95
	s_waitcnt vmcnt(11)
	v_mul_f16_sdwa v95, v160, v150 dst_sel:DWORD dst_unused:UNUSED_PAD src0_sel:DWORD src1_sel:WORD_1
	v_mul_f16_sdwa v164, v96, v150 dst_sel:DWORD dst_unused:UNUSED_PAD src0_sel:DWORD src1_sel:WORD_1
	v_fma_f16 v161, v96, v150, -v95
	v_fma_f16 v150, v160, v150, v164
	global_load_dword v160, v[83:84], off offset:1844
	v_pack_b32_f16 v150, v161, v150
	global_load_dword v161, v[83:84], off offset:2240
	ds_read2_b32 v[95:96], v91 offset0:140 offset1:239
	ds_write2_b32 v94, v98, v150 offset0:70 offset1:169
	s_waitcnt lgkmcnt(1)
	v_lshrrev_b32_e32 v98, 16, v95
	s_waitcnt vmcnt(12)
	v_mul_f16_sdwa v150, v98, v151 dst_sel:DWORD dst_unused:UNUSED_PAD src0_sel:DWORD src1_sel:WORD_1
	v_fma_f16 v150, v95, v151, -v150
	v_mul_f16_sdwa v95, v95, v151 dst_sel:DWORD dst_unused:UNUSED_PAD src0_sel:DWORD src1_sel:WORD_1
	v_fma_f16 v95, v98, v151, v95
	v_lshrrev_b32_e32 v98, 16, v96
	v_pack_b32_f16 v95, v150, v95
	s_waitcnt vmcnt(11)
	v_mul_f16_sdwa v150, v98, v152 dst_sel:DWORD dst_unused:UNUSED_PAD src0_sel:DWORD src1_sel:WORD_1
	v_fma_f16 v164, v96, v152, -v150
	ds_read2_b32 v[150:151], v87 offset0:82 offset1:181
	v_mul_f16_sdwa v96, v96, v152 dst_sel:DWORD dst_unused:UNUSED_PAD src0_sel:DWORD src1_sel:WORD_1
	v_fma_f16 v96, v98, v152, v96
	v_pack_b32_f16 v96, v164, v96
	ds_write2_b32 v91, v95, v96 offset0:140 offset1:239
	s_waitcnt lgkmcnt(1)
	v_lshrrev_b32_e32 v95, 16, v150
	s_waitcnt vmcnt(10)
	v_mul_f16_sdwa v96, v95, v153 dst_sel:DWORD dst_unused:UNUSED_PAD src0_sel:DWORD src1_sel:WORD_1
	v_mul_f16_sdwa v98, v150, v153 dst_sel:DWORD dst_unused:UNUSED_PAD src0_sel:DWORD src1_sel:WORD_1
	v_fma_f16 v96, v150, v153, -v96
	v_fma_f16 v95, v95, v153, v98
	v_lshrrev_b32_e32 v150, 16, v151
	v_pack_b32_f16 v98, v96, v95
	s_waitcnt vmcnt(9)
	v_mul_f16_sdwa v95, v150, v154 dst_sel:DWORD dst_unused:UNUSED_PAD src0_sel:DWORD src1_sel:WORD_1
	v_fma_f16 v152, v151, v154, -v95
	ds_read2_b32 v[95:96], v90 offset0:24 offset1:123
	v_mul_f16_sdwa v151, v151, v154 dst_sel:DWORD dst_unused:UNUSED_PAD src0_sel:DWORD src1_sel:WORD_1
	v_fma_f16 v150, v150, v154, v151
	v_pack_b32_f16 v150, v152, v150
	ds_write2_b32 v87, v98, v150 offset0:82 offset1:181
	s_waitcnt lgkmcnt(1)
	v_lshrrev_b32_e32 v98, 16, v95
	s_waitcnt vmcnt(8)
	v_mul_f16_sdwa v150, v98, v155 dst_sel:DWORD dst_unused:UNUSED_PAD src0_sel:DWORD src1_sel:WORD_1
	v_fma_f16 v150, v95, v155, -v150
	v_mul_f16_sdwa v95, v95, v155 dst_sel:DWORD dst_unused:UNUSED_PAD src0_sel:DWORD src1_sel:WORD_1
	v_fma_f16 v95, v98, v155, v95
	v_lshrrev_b32_e32 v98, 16, v96
	v_pack_b32_f16 v95, v150, v95
	s_waitcnt vmcnt(7)
	v_mul_f16_sdwa v150, v98, v157 dst_sel:DWORD dst_unused:UNUSED_PAD src0_sel:DWORD src1_sel:WORD_1
	v_fma_f16 v152, v96, v157, -v150
	ds_read2_b32 v[150:151], v93 offset0:94 offset1:193
	v_mul_f16_sdwa v96, v96, v157 dst_sel:DWORD dst_unused:UNUSED_PAD src0_sel:DWORD src1_sel:WORD_1
	v_fma_f16 v96, v98, v157, v96
	v_pack_b32_f16 v96, v152, v96
	ds_write2_b32 v90, v95, v96 offset0:24 offset1:123
	s_waitcnt lgkmcnt(1)
	v_lshrrev_b32_e32 v95, 16, v150
	s_waitcnt vmcnt(6)
	v_mul_f16_sdwa v96, v95, v156 dst_sel:DWORD dst_unused:UNUSED_PAD src0_sel:DWORD src1_sel:WORD_1
	v_mul_f16_sdwa v98, v150, v156 dst_sel:DWORD dst_unused:UNUSED_PAD src0_sel:DWORD src1_sel:WORD_1
	v_fma_f16 v96, v150, v156, -v96
	v_fma_f16 v95, v95, v156, v98
	v_lshrrev_b32_e32 v152, 16, v151
	v_pack_b32_f16 v150, v96, v95
	s_waitcnt vmcnt(5)
	v_mul_f16_sdwa v95, v152, v159 dst_sel:DWORD dst_unused:UNUSED_PAD src0_sel:DWORD src1_sel:WORD_1
	v_add_u32_e32 v98, 0x1200, v99
	v_fma_f16 v153, v151, v159, -v95
	ds_read2_b32 v[95:96], v98 offset0:36 offset1:135
	v_mul_f16_sdwa v151, v151, v159 dst_sel:DWORD dst_unused:UNUSED_PAD src0_sel:DWORD src1_sel:WORD_1
	v_fma_f16 v151, v152, v159, v151
	v_pack_b32_f16 v151, v153, v151
	ds_write2_b32 v93, v150, v151 offset0:94 offset1:193
	s_waitcnt lgkmcnt(1)
	v_lshrrev_b32_e32 v150, 16, v95
	s_waitcnt vmcnt(4)
	v_mul_f16_sdwa v151, v150, v158 dst_sel:DWORD dst_unused:UNUSED_PAD src0_sel:DWORD src1_sel:WORD_1
	v_fma_f16 v151, v95, v158, -v151
	v_mul_f16_sdwa v95, v95, v158 dst_sel:DWORD dst_unused:UNUSED_PAD src0_sel:DWORD src1_sel:WORD_1
	v_lshrrev_b32_e32 v152, 16, v96
	v_fma_f16 v95, v150, v158, v95
	s_waitcnt vmcnt(3)
	v_mul_f16_sdwa v150, v152, v162 dst_sel:DWORD dst_unused:UNUSED_PAD src0_sel:DWORD src1_sel:WORD_1
	v_pack_b32_f16 v95, v151, v95
	v_fma_f16 v153, v96, v162, -v150
	ds_read2_b32 v[150:151], v97 offset0:106 offset1:205
	v_mul_f16_sdwa v96, v96, v162 dst_sel:DWORD dst_unused:UNUSED_PAD src0_sel:DWORD src1_sel:WORD_1
	v_fma_f16 v96, v152, v162, v96
	v_pack_b32_f16 v96, v153, v96
	ds_write2_b32 v98, v95, v96 offset0:36 offset1:135
	s_waitcnt lgkmcnt(1)
	v_lshrrev_b32_e32 v95, 16, v150
	s_waitcnt vmcnt(2)
	v_mul_f16_sdwa v96, v95, v163 dst_sel:DWORD dst_unused:UNUSED_PAD src0_sel:DWORD src1_sel:WORD_1
	v_fma_f16 v96, v150, v163, -v96
	v_mul_f16_sdwa v150, v150, v163 dst_sel:DWORD dst_unused:UNUSED_PAD src0_sel:DWORD src1_sel:WORD_1
	v_fma_f16 v95, v95, v163, v150
	v_pack_b32_f16 v95, v96, v95
	v_lshrrev_b32_e32 v96, 16, v151
	ds_read_b32 v152, v99 offset:6336
	s_waitcnt vmcnt(1)
	v_mul_f16_sdwa v150, v96, v160 dst_sel:DWORD dst_unused:UNUSED_PAD src0_sel:DWORD src1_sel:WORD_1
	v_fma_f16 v150, v151, v160, -v150
	v_mul_f16_sdwa v151, v151, v160 dst_sel:DWORD dst_unused:UNUSED_PAD src0_sel:DWORD src1_sel:WORD_1
	v_fma_f16 v96, v96, v160, v151
	v_pack_b32_f16 v96, v150, v96
	ds_write2_b32 v97, v95, v96 offset0:106 offset1:205
	s_waitcnt lgkmcnt(1)
	v_lshrrev_b32_e32 v95, 16, v152
	s_waitcnt vmcnt(0)
	v_mul_f16_sdwa v96, v95, v161 dst_sel:DWORD dst_unused:UNUSED_PAD src0_sel:DWORD src1_sel:WORD_1
	v_mul_f16_sdwa v150, v152, v161 dst_sel:DWORD dst_unused:UNUSED_PAD src0_sel:DWORD src1_sel:WORD_1
	v_fma_f16 v96, v152, v161, -v96
	v_fma_f16 v95, v95, v161, v150
	v_pack_b32_f16 v95, v96, v95
	ds_write_b32 v99, v95 offset:6336
	s_and_saveexec_b64 s[0:1], vcc
	s_cbranch_execz .LBB0_9
; %bb.8:
	global_load_dword v95, v[85:86], off offset:204
	global_load_dword v96, v[85:86], off offset:600
	;; [unrolled: 1-line block ×11, first 2 shown]
	ds_read2_b32 v[85:86], v99 offset0:51 offset1:150
	global_load_dword v163, v[83:84], off offset:464
	global_load_dword v164, v[83:84], off offset:860
	;; [unrolled: 1-line block ×5, first 2 shown]
	v_mov_b32_e32 v150, 0x1800
	v_lshl_or_b32 v83, v100, 2, v150
	global_load_dword v168, v83, s[4:5]
	s_waitcnt lgkmcnt(0)
	v_lshrrev_b32_e32 v83, 16, v85
	v_lshrrev_b32_e32 v84, 16, v86
	s_waitcnt vmcnt(16)
	v_mul_f16_sdwa v150, v83, v95 dst_sel:DWORD dst_unused:UNUSED_PAD src0_sel:DWORD src1_sel:WORD_1
	v_mul_f16_sdwa v151, v85, v95 dst_sel:DWORD dst_unused:UNUSED_PAD src0_sel:DWORD src1_sel:WORD_1
	s_waitcnt vmcnt(15)
	v_mul_f16_sdwa v152, v84, v96 dst_sel:DWORD dst_unused:UNUSED_PAD src0_sel:DWORD src1_sel:WORD_1
	v_mul_f16_sdwa v153, v86, v96 dst_sel:DWORD dst_unused:UNUSED_PAD src0_sel:DWORD src1_sel:WORD_1
	v_fma_f16 v85, v85, v95, -v150
	v_fma_f16 v83, v83, v95, v151
	v_fma_f16 v86, v86, v96, -v152
	v_fma_f16 v84, v84, v96, v153
	v_pack_b32_f16 v83, v85, v83
	v_pack_b32_f16 v84, v86, v84
	ds_write2_b32 v99, v83, v84 offset0:51 offset1:150
	ds_read2_b32 v[83:84], v94 offset0:121 offset1:220
	ds_read2_b32 v[85:86], v89 offset0:63 offset1:162
	;; [unrolled: 1-line block ×5, first 2 shown]
	s_waitcnt lgkmcnt(4)
	v_lshrrev_b32_e32 v169, 16, v83
	s_waitcnt vmcnt(14)
	v_mul_f16_sdwa v170, v83, v154 dst_sel:DWORD dst_unused:UNUSED_PAD src0_sel:DWORD src1_sel:WORD_1
	v_lshrrev_b32_e32 v171, 16, v84
	s_waitcnt vmcnt(13)
	v_mul_f16_sdwa v172, v84, v155 dst_sel:DWORD dst_unused:UNUSED_PAD src0_sel:DWORD src1_sel:WORD_1
	s_waitcnt lgkmcnt(3)
	v_lshrrev_b32_e32 v173, 16, v85
	s_waitcnt vmcnt(12)
	v_mul_f16_sdwa v174, v85, v156 dst_sel:DWORD dst_unused:UNUSED_PAD src0_sel:DWORD src1_sel:WORD_1
	v_lshrrev_b32_e32 v175, 16, v86
	s_waitcnt vmcnt(11)
	v_mul_f16_sdwa v176, v86, v157 dst_sel:DWORD dst_unused:UNUSED_PAD src0_sel:DWORD src1_sel:WORD_1
	;; [unrolled: 7-line block ×3, first 2 shown]
	s_waitcnt lgkmcnt(1)
	v_lshrrev_b32_e32 v181, 16, v150
	s_waitcnt vmcnt(8)
	v_mul_f16_sdwa v182, v150, v160 dst_sel:DWORD dst_unused:UNUSED_PAD src0_sel:DWORD src1_sel:WORD_1
	v_lshrrev_b32_e32 v183, 16, v151
	v_mul_f16_sdwa v187, v169, v154 dst_sel:DWORD dst_unused:UNUSED_PAD src0_sel:DWORD src1_sel:WORD_1
	v_fma_f16 v169, v169, v154, v170
	v_mul_f16_sdwa v170, v171, v155 dst_sel:DWORD dst_unused:UNUSED_PAD src0_sel:DWORD src1_sel:WORD_1
	v_fma_f16 v171, v171, v155, v172
	;; [unrolled: 2-line block ×3, first 2 shown]
	v_mul_f16_sdwa v174, v175, v157 dst_sel:DWORD dst_unused:UNUSED_PAD src0_sel:DWORD src1_sel:WORD_1
	s_waitcnt vmcnt(7)
	v_mul_f16_sdwa v184, v151, v161 dst_sel:DWORD dst_unused:UNUSED_PAD src0_sel:DWORD src1_sel:WORD_1
	s_waitcnt lgkmcnt(0)
	v_lshrrev_b32_e32 v185, 16, v152
	v_fma_f16 v175, v175, v157, v176
	v_mul_f16_sdwa v176, v177, v158 dst_sel:DWORD dst_unused:UNUSED_PAD src0_sel:DWORD src1_sel:WORD_1
	v_fma_f16 v177, v177, v158, v178
	v_mul_f16_sdwa v178, v179, v159 dst_sel:DWORD dst_unused:UNUSED_PAD src0_sel:DWORD src1_sel:WORD_1
	v_fma_f16 v179, v179, v159, v180
	v_mul_f16_sdwa v180, v181, v160 dst_sel:DWORD dst_unused:UNUSED_PAD src0_sel:DWORD src1_sel:WORD_1
	v_fma_f16 v181, v181, v160, v182
	v_mul_f16_sdwa v182, v183, v161 dst_sel:DWORD dst_unused:UNUSED_PAD src0_sel:DWORD src1_sel:WORD_1
	v_fma_f16 v83, v83, v154, -v187
	v_fma_f16 v84, v84, v155, -v170
	;; [unrolled: 1-line block ×3, first 2 shown]
	s_waitcnt vmcnt(6)
	v_mul_f16_sdwa v186, v152, v162 dst_sel:DWORD dst_unused:UNUSED_PAD src0_sel:DWORD src1_sel:WORD_1
	v_fma_f16 v183, v183, v161, v184
	v_mul_f16_sdwa v184, v185, v162 dst_sel:DWORD dst_unused:UNUSED_PAD src0_sel:DWORD src1_sel:WORD_1
	v_fma_f16 v85, v85, v156, -v172
	v_fma_f16 v95, v95, v158, -v176
	v_fma_f16 v96, v96, v159, -v178
	v_fma_f16 v150, v150, v160, -v180
	v_fma_f16 v151, v151, v161, -v182
	v_pack_b32_f16 v83, v83, v169
	v_pack_b32_f16 v84, v84, v171
	v_pack_b32_f16 v86, v86, v175
	v_fma_f16 v152, v152, v162, -v184
	v_pack_b32_f16 v85, v85, v173
	v_pack_b32_f16 v95, v95, v177
	;; [unrolled: 1-line block ×5, first 2 shown]
	ds_write2_b32 v94, v83, v84 offset0:121 offset1:220
	ds_write2_b32 v89, v85, v86 offset0:63 offset1:162
	;; [unrolled: 1-line block ×4, first 2 shown]
	v_fma_f16 v83, v185, v162, v186
	v_lshrrev_b32_e32 v86, 16, v153
	v_pack_b32_f16 v85, v152, v83
	s_waitcnt vmcnt(5)
	v_mul_f16_sdwa v83, v86, v163 dst_sel:DWORD dst_unused:UNUSED_PAD src0_sel:DWORD src1_sel:WORD_1
	v_fma_f16 v89, v153, v163, -v83
	ds_read2_b32 v[83:84], v98 offset0:87 offset1:186
	v_mul_f16_sdwa v95, v153, v163 dst_sel:DWORD dst_unused:UNUSED_PAD src0_sel:DWORD src1_sel:WORD_1
	v_fma_f16 v86, v86, v163, v95
	v_pack_b32_f16 v86, v89, v86
	ds_write2_b32 v88, v85, v86 offset0:17 offset1:116
	s_waitcnt lgkmcnt(1)
	v_lshrrev_b32_e32 v85, 16, v83
	s_waitcnt vmcnt(4)
	v_mul_f16_sdwa v86, v85, v164 dst_sel:DWORD dst_unused:UNUSED_PAD src0_sel:DWORD src1_sel:WORD_1
	v_fma_f16 v86, v83, v164, -v86
	v_mul_f16_sdwa v83, v83, v164 dst_sel:DWORD dst_unused:UNUSED_PAD src0_sel:DWORD src1_sel:WORD_1
	v_lshrrev_b32_e32 v88, 16, v84
	v_fma_f16 v83, v85, v164, v83
	s_waitcnt vmcnt(3)
	v_mul_f16_sdwa v85, v88, v165 dst_sel:DWORD dst_unused:UNUSED_PAD src0_sel:DWORD src1_sel:WORD_1
	v_pack_b32_f16 v83, v86, v83
	v_fma_f16 v89, v84, v165, -v85
	ds_read2_b32 v[85:86], v92 offset0:29 offset1:128
	v_mul_f16_sdwa v84, v84, v165 dst_sel:DWORD dst_unused:UNUSED_PAD src0_sel:DWORD src1_sel:WORD_1
	v_fma_f16 v84, v88, v165, v84
	v_pack_b32_f16 v84, v89, v84
	ds_write2_b32 v98, v83, v84 offset0:87 offset1:186
	s_waitcnt lgkmcnt(1)
	v_lshrrev_b32_e32 v83, 16, v85
	s_waitcnt vmcnt(2)
	v_mul_f16_sdwa v84, v83, v166 dst_sel:DWORD dst_unused:UNUSED_PAD src0_sel:DWORD src1_sel:WORD_1
	v_fma_f16 v84, v85, v166, -v84
	v_mul_f16_sdwa v85, v85, v166 dst_sel:DWORD dst_unused:UNUSED_PAD src0_sel:DWORD src1_sel:WORD_1
	v_fma_f16 v83, v83, v166, v85
	v_pack_b32_f16 v83, v84, v83
	v_lshrrev_b32_e32 v84, 16, v86
	ds_read_b32 v88, v99 offset:6540
	s_waitcnt vmcnt(0)
	v_mul_f16_sdwa v85, v84, v168 dst_sel:DWORD dst_unused:UNUSED_PAD src0_sel:DWORD src1_sel:WORD_1
	v_fma_f16 v85, v86, v168, -v85
	v_mul_f16_sdwa v86, v86, v168 dst_sel:DWORD dst_unused:UNUSED_PAD src0_sel:DWORD src1_sel:WORD_1
	v_fma_f16 v84, v84, v168, v86
	v_pack_b32_f16 v84, v85, v84
	ds_write2_b32 v92, v83, v84 offset0:29 offset1:128
	s_waitcnt lgkmcnt(1)
	v_lshrrev_b32_e32 v83, 16, v88
	v_mul_f16_sdwa v84, v83, v167 dst_sel:DWORD dst_unused:UNUSED_PAD src0_sel:DWORD src1_sel:WORD_1
	v_mul_f16_sdwa v85, v88, v167 dst_sel:DWORD dst_unused:UNUSED_PAD src0_sel:DWORD src1_sel:WORD_1
	v_fma_f16 v84, v88, v167, -v84
	v_fma_f16 v83, v83, v167, v85
	v_pack_b32_f16 v83, v84, v83
	ds_write_b32 v99, v83 offset:6540
.LBB0_9:
	s_or_b64 exec, exec, s[0:1]
	s_waitcnt lgkmcnt(0)
	; wave barrier
	s_waitcnt lgkmcnt(0)
	ds_read2_b32 v[83:84], v99 offset1:99
	ds_read2_b32 v[95:96], v94 offset0:70 offset1:169
	ds_read2_b32 v[91:92], v91 offset0:140 offset1:239
	;; [unrolled: 1-line block ×7, first 2 shown]
	ds_read_b32 v150, v99 offset:6336
	s_and_saveexec_b64 s[0:1], vcc
	s_cbranch_execz .LBB0_11
; %bb.10:
	v_add_u32_e32 v69, 0x200, v99
	v_add_u32_e32 v71, 0x600, v99
	;; [unrolled: 1-line block ×7, first 2 shown]
	ds_read2_b32 v[67:68], v99 offset0:51 offset1:150
	ds_read2_b32 v[69:70], v69 offset0:121 offset1:220
	;; [unrolled: 1-line block ×8, first 2 shown]
	ds_read_b32 v18, v99 offset:6540
	s_waitcnt lgkmcnt(8)
	v_lshrrev_b32_e32 v134, 16, v67
	v_lshrrev_b32_e32 v135, 16, v68
	s_waitcnt lgkmcnt(7)
	v_lshrrev_b32_e32 v136, 16, v69
	v_lshrrev_b32_e32 v137, 16, v70
	;; [unrolled: 3-line block ×8, first 2 shown]
	s_waitcnt lgkmcnt(0)
	v_lshrrev_b32_e32 v120, 16, v18
.LBB0_11:
	s_or_b64 exec, exec, s[0:1]
	s_waitcnt lgkmcnt(8)
	v_pk_add_f16 v151, v83, v84
	s_waitcnt lgkmcnt(7)
	v_pk_add_f16 v151, v151, v95
	v_pk_add_f16 v151, v151, v96
	s_waitcnt lgkmcnt(6)
	v_pk_add_f16 v151, v151, v91
	;; [unrolled: 3-line block ×8, first 2 shown]
	v_pk_add_f16 v151, v84, v150 neg_lo:[0,1] neg_hi:[0,1]
	s_mov_b32 s4, 0xb5c8
	v_pk_add_f16 v152, v150, v84
	v_pk_mul_f16 v150, v151, s4 op_sel_hi:[1,0]
	s_movk_i32 s2, 0x3b76
	s_mov_b32 s12, 0xb964
	v_pk_add_f16 v180, v95, v98 neg_lo:[0,1] neg_hi:[0,1]
	v_pk_fma_f16 v84, v152, s2, v150 op_sel:[0,0,1] op_sel_hi:[1,0,0]
	v_pk_fma_f16 v150, v152, s2, v150 op_sel:[0,0,1] op_sel_hi:[1,0,0] neg_lo:[0,0,1] neg_hi:[0,0,1]
	s_mov_b32 s0, 0xffff
	s_movk_i32 s3, 0x39e9
	v_pk_add_f16 v179, v98, v95
	v_pk_mul_f16 v98, v180, s12 op_sel_hi:[1,0]
	v_bfi_b32 v154, s0, v84, v150
	v_pk_fma_f16 v95, v179, s3, v98 op_sel:[0,0,1] op_sel_hi:[1,0,0]
	v_pk_fma_f16 v98, v179, s3, v98 op_sel:[0,0,1] op_sel_hi:[1,0,0] neg_lo:[0,0,1] neg_hi:[0,0,1]
	v_pk_add_f16 v154, v83, v154
	v_mul_f16_sdwa v155, v151, s12 dst_sel:DWORD dst_unused:UNUSED_PAD src0_sel:WORD_1 src1_sel:DWORD
	s_mov_b32 s18, 0xbbf7
	v_bfi_b32 v181, s0, v95, v98
	v_fma_f16 v156, v152, s3, v155
	s_movk_i32 s13, 0x2de8
	v_pk_add_f16 v154, v181, v154
	v_mul_f16_sdwa v181, v180, s18 dst_sel:DWORD dst_unused:UNUSED_PAD src0_sel:WORD_1 src1_sel:DWORD
	v_add_f16_e32 v156, v83, v156
	v_mul_f16_sdwa v157, v152, s3 dst_sel:DWORD dst_unused:UNUSED_PAD src0_sel:WORD_1 src1_sel:DWORD
	s_movk_i32 s25, 0x3964
	v_fma_f16 v155, v152, s3, -v155
	v_fma_f16 v182, v179, s13, v181
	v_fma_f16 v158, v151, s25, v157
	v_add_f16_e32 v155, v83, v155
	v_fma_f16 v157, v151, s12, v157
	s_mov_b32 s16, 0xbb29
	v_add_f16_e32 v156, v182, v156
	v_mul_f16_sdwa v182, v179, s13 dst_sel:DWORD dst_unused:UNUSED_PAD src0_sel:WORD_1 src1_sel:DWORD
	v_fma_f16 v181, v179, s13, -v181
	v_add_f16_sdwa v157, v83, v157 dst_sel:DWORD dst_unused:UNUSED_PAD src0_sel:WORD_1 src1_sel:DWORD
	v_mul_f16_sdwa v159, v151, s16 dst_sel:DWORD dst_unused:UNUSED_PAD src0_sel:WORD_1 src1_sel:DWORD
	s_movk_i32 s5, 0x3722
	s_mov_b32 s23, 0xba62
	v_add_f16_e32 v155, v181, v155
	v_fma_f16 v181, v180, s18, v182
	v_fma_f16 v160, v152, s5, v159
	s_mov_b32 s19, 0xb8d2
	v_add_f16_e32 v157, v181, v157
	v_mul_f16_sdwa v181, v180, s23 dst_sel:DWORD dst_unused:UNUSED_PAD src0_sel:WORD_1 src1_sel:DWORD
	v_add_f16_e32 v160, v83, v160
	v_mul_f16_sdwa v161, v152, s5 dst_sel:DWORD dst_unused:UNUSED_PAD src0_sel:WORD_1 src1_sel:DWORD
	s_movk_i32 s21, 0x3b29
	v_fma_f16 v159, v152, s5, -v159
	v_fma_f16 v183, v180, s31, v182
	v_fma_f16 v182, v179, s19, v181
	;; [unrolled: 1-line block ×3, first 2 shown]
	v_add_f16_e32 v159, v83, v159
	v_fma_f16 v161, v151, s16, v161
	v_add_f16_e32 v160, v182, v160
	v_mul_f16_sdwa v182, v179, s19 dst_sel:DWORD dst_unused:UNUSED_PAD src0_sel:WORD_1 src1_sel:DWORD
	v_fma_f16 v181, v179, s19, -v181
	v_add_f16_sdwa v161, v83, v161 dst_sel:DWORD dst_unused:UNUSED_PAD src0_sel:WORD_1 src1_sel:DWORD
	v_mul_f16_sdwa v163, v151, s18 dst_sel:DWORD dst_unused:UNUSED_PAD src0_sel:WORD_1 src1_sel:DWORD
	v_add_f16_e32 v159, v181, v159
	v_fma_f16 v181, v180, s23, v182
	s_mov_b32 s28, 0xb1e1
	v_add_f16_sdwa v158, v83, v158 dst_sel:DWORD dst_unused:UNUSED_PAD src0_sel:WORD_1 src1_sel:DWORD
	v_fma_f16 v164, v152, s13, v163
	s_movk_i32 s30, 0x3a62
	v_add_f16_e32 v161, v181, v161
	v_mul_f16_sdwa v181, v180, s28 dst_sel:DWORD dst_unused:UNUSED_PAD src0_sel:WORD_1 src1_sel:DWORD
	s_mov_b32 s27, 0xbbdd
	v_add_f16_e32 v164, v83, v164
	v_mul_f16_sdwa v165, v152, s13 dst_sel:DWORD dst_unused:UNUSED_PAD src0_sel:WORD_1 src1_sel:DWORD
	v_fma_f16 v163, v152, s13, -v163
	v_add_f16_e32 v158, v183, v158
	v_fma_f16 v183, v180, s30, v182
	v_fma_f16 v182, v179, s27, v181
	;; [unrolled: 1-line block ×3, first 2 shown]
	v_add_f16_e32 v163, v83, v163
	v_fma_f16 v165, v151, s18, v165
	s_mov_b32 s20, 0xbbb2
	v_add_f16_e32 v164, v182, v164
	v_mul_f16_sdwa v182, v179, s27 dst_sel:DWORD dst_unused:UNUSED_PAD src0_sel:WORD_1 src1_sel:DWORD
	v_fma_f16 v181, v179, s27, -v181
	v_add_f16_sdwa v165, v83, v165 dst_sel:DWORD dst_unused:UNUSED_PAD src0_sel:WORD_1 src1_sel:DWORD
	v_mul_f16_sdwa v167, v151, s20 dst_sel:DWORD dst_unused:UNUSED_PAD src0_sel:WORD_1 src1_sel:DWORD
	s_mov_b32 s17, 0xb461
	s_movk_i32 s29, 0x3836
	v_add_f16_e32 v163, v181, v163
	v_fma_f16 v181, v180, s28, v182
	v_add_f16_sdwa v162, v83, v162 dst_sel:DWORD dst_unused:UNUSED_PAD src0_sel:WORD_1 src1_sel:DWORD
	v_fma_f16 v168, v152, s17, v167
	s_movk_i32 s33, 0x31e1
	v_add_f16_e32 v165, v181, v165
	v_mul_f16_sdwa v181, v180, s29 dst_sel:DWORD dst_unused:UNUSED_PAD src0_sel:WORD_1 src1_sel:DWORD
	v_add_f16_e32 v168, v83, v168
	v_mul_f16_sdwa v169, v152, s17 dst_sel:DWORD dst_unused:UNUSED_PAD src0_sel:WORD_1 src1_sel:DWORD
	s_movk_i32 s26, 0x3bb2
	v_fma_f16 v167, v152, s17, -v167
	v_add_f16_e32 v162, v183, v162
	v_fma_f16 v183, v180, s33, v182
	v_fma_f16 v182, v179, s22, v181
	;; [unrolled: 1-line block ×3, first 2 shown]
	v_add_f16_e32 v167, v83, v167
	v_fma_f16 v169, v151, s20, v169
	v_add_f16_e32 v168, v182, v168
	v_mul_f16_sdwa v182, v179, s22 dst_sel:DWORD dst_unused:UNUSED_PAD src0_sel:WORD_1 src1_sel:DWORD
	v_fma_f16 v181, v179, s22, -v181
	v_add_f16_sdwa v169, v83, v169 dst_sel:DWORD dst_unused:UNUSED_PAD src0_sel:WORD_1 src1_sel:DWORD
	v_mul_f16_sdwa v171, v151, s23 dst_sel:DWORD dst_unused:UNUSED_PAD src0_sel:WORD_1 src1_sel:DWORD
	v_add_f16_e32 v167, v181, v167
	v_fma_f16 v181, v180, s29, v182
	v_add_f16_sdwa v166, v83, v166 dst_sel:DWORD dst_unused:UNUSED_PAD src0_sel:WORD_1 src1_sel:DWORD
	v_fma_f16 v172, v152, s19, v171
	s_mov_b32 s24, 0xb836
	v_add_f16_e32 v169, v181, v169
	v_mul_f16_sdwa v181, v180, s26 dst_sel:DWORD dst_unused:UNUSED_PAD src0_sel:WORD_1 src1_sel:DWORD
	v_add_f16_e32 v172, v83, v172
	v_mul_f16_sdwa v173, v152, s19 dst_sel:DWORD dst_unused:UNUSED_PAD src0_sel:WORD_1 src1_sel:DWORD
	v_fma_f16 v171, v152, s19, -v171
	v_add_f16_e32 v166, v183, v166
	v_fma_f16 v183, v180, s24, v182
	v_fma_f16 v182, v179, s17, v181
	;; [unrolled: 1-line block ×3, first 2 shown]
	v_add_f16_e32 v171, v83, v171
	v_fma_f16 v173, v151, s23, v173
	v_add_f16_e32 v172, v182, v172
	v_mul_f16_sdwa v182, v179, s17 dst_sel:DWORD dst_unused:UNUSED_PAD src0_sel:WORD_1 src1_sel:DWORD
	v_fma_f16 v181, v179, s17, -v181
	v_add_f16_sdwa v173, v83, v173 dst_sel:DWORD dst_unused:UNUSED_PAD src0_sel:WORD_1 src1_sel:DWORD
	v_mul_f16_sdwa v175, v151, s24 dst_sel:DWORD dst_unused:UNUSED_PAD src0_sel:WORD_1 src1_sel:DWORD
	v_add_f16_e32 v171, v181, v171
	v_fma_f16 v181, v180, s26, v182
	v_add_f16_sdwa v170, v83, v170 dst_sel:DWORD dst_unused:UNUSED_PAD src0_sel:WORD_1 src1_sel:DWORD
	v_fma_f16 v176, v152, s22, v175
	v_add_f16_e32 v173, v181, v173
	v_mul_f16_sdwa v181, v180, s21 dst_sel:DWORD dst_unused:UNUSED_PAD src0_sel:WORD_1 src1_sel:DWORD
	v_add_f16_e32 v176, v83, v176
	v_mul_f16_sdwa v177, v152, s22 dst_sel:DWORD dst_unused:UNUSED_PAD src0_sel:WORD_1 src1_sel:DWORD
	v_fma_f16 v175, v152, s22, -v175
	v_add_f16_e32 v170, v183, v170
	v_fma_f16 v183, v180, s20, v182
	v_fma_f16 v182, v179, s5, v181
	;; [unrolled: 1-line block ×3, first 2 shown]
	v_add_f16_e32 v175, v83, v175
	v_fma_f16 v177, v151, s24, v177
	v_add_f16_e32 v176, v182, v176
	v_mul_f16_sdwa v182, v179, s5 dst_sel:DWORD dst_unused:UNUSED_PAD src0_sel:WORD_1 src1_sel:DWORD
	v_fma_f16 v181, v179, s5, -v181
	v_add_f16_sdwa v177, v83, v177 dst_sel:DWORD dst_unused:UNUSED_PAD src0_sel:WORD_1 src1_sel:DWORD
	v_add_f16_e32 v175, v181, v175
	v_fma_f16 v181, v180, s21, v182
	v_add_f16_e32 v177, v181, v177
	v_pk_add_f16 v181, v97, v96
	v_pk_add_f16 v96, v96, v97 neg_lo:[0,1] neg_hi:[0,1]
	v_add_f16_sdwa v174, v83, v174 dst_sel:DWORD dst_unused:UNUSED_PAD src0_sel:WORD_1 src1_sel:DWORD
	v_pk_mul_f16 v97, v96, s16 op_sel_hi:[1,0]
	v_add_f16_sdwa v178, v83, v178 dst_sel:DWORD dst_unused:UNUSED_PAD src0_sel:WORD_1 src1_sel:DWORD
	v_add_f16_e32 v174, v183, v174
	v_fma_f16 v183, v180, s16, v182
	v_pk_fma_f16 v182, v181, s5, v97 op_sel:[0,0,1] op_sel_hi:[1,0,0]
	v_pk_fma_f16 v97, v181, s5, v97 op_sel:[0,0,1] op_sel_hi:[1,0,0] neg_lo:[0,0,1] neg_hi:[0,0,1]
	v_add_f16_e32 v178, v183, v178
	v_bfi_b32 v183, s0, v182, v97
	v_pk_add_f16 v154, v183, v154
	v_mul_f16_sdwa v183, v96, s23 dst_sel:DWORD dst_unused:UNUSED_PAD src0_sel:WORD_1 src1_sel:DWORD
	v_fma_f16 v184, v181, s19, v183
	v_add_f16_e32 v156, v184, v156
	v_mul_f16_sdwa v184, v181, s19 dst_sel:DWORD dst_unused:UNUSED_PAD src0_sel:WORD_1 src1_sel:DWORD
	v_fma_f16 v183, v181, s19, -v183
	v_add_f16_e32 v155, v183, v155
	v_fma_f16 v183, v96, s23, v184
	v_add_f16_e32 v157, v183, v157
	v_mul_f16_sdwa v183, v96, s33 dst_sel:DWORD dst_unused:UNUSED_PAD src0_sel:WORD_1 src1_sel:DWORD
	v_fma_f16 v185, v96, s30, v184
	v_fma_f16 v184, v181, s27, v183
	v_add_f16_e32 v160, v184, v160
	v_mul_f16_sdwa v184, v181, s27 dst_sel:DWORD dst_unused:UNUSED_PAD src0_sel:WORD_1 src1_sel:DWORD
	v_fma_f16 v183, v181, s27, -v183
	v_add_f16_e32 v159, v183, v159
	v_fma_f16 v183, v96, s33, v184
	v_add_f16_e32 v161, v183, v161
	v_mul_f16_sdwa v183, v96, s26 dst_sel:DWORD dst_unused:UNUSED_PAD src0_sel:WORD_1 src1_sel:DWORD
	v_add_f16_e32 v158, v185, v158
	v_fma_f16 v185, v96, s28, v184
	v_fma_f16 v184, v181, s17, v183
	v_add_f16_e32 v164, v184, v164
	v_mul_f16_sdwa v184, v181, s17 dst_sel:DWORD dst_unused:UNUSED_PAD src0_sel:WORD_1 src1_sel:DWORD
	v_fma_f16 v183, v181, s17, -v183
	v_add_f16_e32 v163, v183, v163
	v_fma_f16 v183, v96, s26, v184
	v_add_f16_e32 v165, v183, v165
	v_mul_f16_sdwa v183, v96, s25 dst_sel:DWORD dst_unused:UNUSED_PAD src0_sel:WORD_1 src1_sel:DWORD
	v_add_f16_e32 v162, v185, v162
	;; [unrolled: 10-line block ×3, first 2 shown]
	v_fma_f16 v185, v96, s12, v184
	v_fma_f16 v184, v181, s2, v183
	v_add_f16_e32 v172, v184, v172
	v_mul_f16_sdwa v184, v181, s2 dst_sel:DWORD dst_unused:UNUSED_PAD src0_sel:WORD_1 src1_sel:DWORD
	v_fma_f16 v183, v181, s2, -v183
	v_add_f16_e32 v171, v183, v171
	v_fma_f16 v183, v96, s4, v184
	s_movk_i32 s34, 0x35c8
	v_add_f16_e32 v173, v183, v173
	v_mul_f16_sdwa v183, v96, s18 dst_sel:DWORD dst_unused:UNUSED_PAD src0_sel:WORD_1 src1_sel:DWORD
	v_add_f16_e32 v170, v185, v170
	v_fma_f16 v185, v96, s34, v184
	v_fma_f16 v184, v181, s13, v183
	v_add_f16_e32 v176, v184, v176
	v_mul_f16_sdwa v184, v181, s13 dst_sel:DWORD dst_unused:UNUSED_PAD src0_sel:WORD_1 src1_sel:DWORD
	v_fma_f16 v183, v181, s13, -v183
	v_add_f16_e32 v175, v183, v175
	v_fma_f16 v183, v96, s18, v184
	v_add_f16_e32 v177, v183, v177
	v_pk_add_f16 v183, v94, v91
	v_pk_add_f16 v91, v91, v94 neg_lo:[0,1] neg_hi:[0,1]
	v_pk_mul_f16 v94, v91, s18 op_sel_hi:[1,0]
	v_add_f16_e32 v174, v185, v174
	v_fma_f16 v185, v96, s31, v184
	v_pk_fma_f16 v184, v183, s13, v94 op_sel:[0,0,1] op_sel_hi:[1,0,0]
	v_pk_fma_f16 v94, v183, s13, v94 op_sel:[0,0,1] op_sel_hi:[1,0,0] neg_lo:[0,0,1] neg_hi:[0,0,1]
	v_add_f16_e32 v178, v185, v178
	v_bfi_b32 v185, s0, v184, v94
	v_pk_add_f16 v154, v185, v154
	v_mul_f16_sdwa v185, v91, s28 dst_sel:DWORD dst_unused:UNUSED_PAD src0_sel:WORD_1 src1_sel:DWORD
	v_fma_f16 v186, v183, s27, v185
	v_add_f16_e32 v156, v186, v156
	v_mul_f16_sdwa v186, v183, s27 dst_sel:DWORD dst_unused:UNUSED_PAD src0_sel:WORD_1 src1_sel:DWORD
	v_fma_f16 v185, v183, s27, -v185
	v_add_f16_e32 v155, v185, v155
	v_fma_f16 v185, v91, s28, v186
	v_add_f16_e32 v157, v185, v157
	v_mul_f16_sdwa v185, v91, s26 dst_sel:DWORD dst_unused:UNUSED_PAD src0_sel:WORD_1 src1_sel:DWORD
	v_fma_f16 v187, v91, s33, v186
	v_fma_f16 v186, v183, s17, v185
	v_add_f16_e32 v160, v186, v160
	v_mul_f16_sdwa v186, v183, s17 dst_sel:DWORD dst_unused:UNUSED_PAD src0_sel:WORD_1 src1_sel:DWORD
	v_fma_f16 v185, v183, s17, -v185
	v_add_f16_e32 v159, v185, v159
	v_fma_f16 v185, v91, s26, v186
	v_add_f16_e32 v161, v185, v161
	v_mul_f16_sdwa v185, v91, s34 dst_sel:DWORD dst_unused:UNUSED_PAD src0_sel:WORD_1 src1_sel:DWORD
	v_add_f16_e32 v158, v187, v158
	v_fma_f16 v187, v91, s20, v186
	v_fma_f16 v186, v183, s2, v185
	v_add_f16_e32 v164, v186, v164
	v_mul_f16_sdwa v186, v183, s2 dst_sel:DWORD dst_unused:UNUSED_PAD src0_sel:WORD_1 src1_sel:DWORD
	v_fma_f16 v185, v183, s2, -v185
	v_add_f16_e32 v163, v185, v163
	v_fma_f16 v185, v91, s34, v186
	v_add_f16_e32 v165, v185, v165
	v_mul_f16_sdwa v185, v91, s16 dst_sel:DWORD dst_unused:UNUSED_PAD src0_sel:WORD_1 src1_sel:DWORD
	v_add_f16_e32 v162, v187, v162
	;; [unrolled: 10-line block ×4, first 2 shown]
	v_fma_f16 v187, v91, s29, v186
	v_fma_f16 v186, v183, s19, v185
	v_add_f16_e32 v176, v186, v176
	v_mul_f16_sdwa v186, v183, s19 dst_sel:DWORD dst_unused:UNUSED_PAD src0_sel:WORD_1 src1_sel:DWORD
	v_fma_f16 v185, v183, s19, -v185
	v_add_f16_e32 v175, v185, v175
	v_fma_f16 v185, v91, s30, v186
	v_add_f16_e32 v177, v185, v177
	v_pk_add_f16 v185, v93, v92
	v_pk_add_f16 v92, v92, v93 neg_lo:[0,1] neg_hi:[0,1]
	v_pk_mul_f16 v93, v92, s20 op_sel_hi:[1,0]
	v_add_f16_e32 v174, v187, v174
	v_fma_f16 v187, v91, s23, v186
	v_pk_fma_f16 v186, v185, s17, v93 op_sel:[0,0,1] op_sel_hi:[1,0,0]
	v_pk_fma_f16 v93, v185, s17, v93 op_sel:[0,0,1] op_sel_hi:[1,0,0] neg_lo:[0,0,1] neg_hi:[0,0,1]
	v_add_f16_e32 v178, v187, v178
	v_bfi_b32 v187, s0, v186, v93
	v_pk_add_f16 v154, v187, v154
	v_mul_f16_sdwa v187, v92, s29 dst_sel:DWORD dst_unused:UNUSED_PAD src0_sel:WORD_1 src1_sel:DWORD
	v_fma_f16 v188, v185, s22, v187
	v_add_f16_e32 v156, v188, v156
	v_mul_f16_sdwa v188, v185, s22 dst_sel:DWORD dst_unused:UNUSED_PAD src0_sel:WORD_1 src1_sel:DWORD
	v_fma_f16 v187, v185, s22, -v187
	v_add_f16_e32 v155, v187, v155
	v_fma_f16 v187, v92, s29, v188
	v_add_f16_e32 v157, v187, v157
	v_mul_f16_sdwa v187, v92, s25 dst_sel:DWORD dst_unused:UNUSED_PAD src0_sel:WORD_1 src1_sel:DWORD
	v_fma_f16 v189, v92, s24, v188
	v_fma_f16 v188, v185, s3, v187
	v_add_f16_e32 v160, v188, v160
	v_mul_f16_sdwa v188, v185, s3 dst_sel:DWORD dst_unused:UNUSED_PAD src0_sel:WORD_1 src1_sel:DWORD
	v_fma_f16 v187, v185, s3, -v187
	v_add_f16_e32 v159, v187, v159
	v_fma_f16 v187, v92, s25, v188
	v_add_f16_e32 v161, v187, v161
	v_mul_f16_sdwa v187, v92, s16 dst_sel:DWORD dst_unused:UNUSED_PAD src0_sel:WORD_1 src1_sel:DWORD
	v_add_f16_e32 v158, v189, v158
	v_fma_f16 v189, v92, s12, v188
	v_fma_f16 v188, v185, s5, v187
	v_add_f16_e32 v164, v188, v164
	v_mul_f16_sdwa v188, v185, s5 dst_sel:DWORD dst_unused:UNUSED_PAD src0_sel:WORD_1 src1_sel:DWORD
	v_fma_f16 v187, v185, s5, -v187
	v_add_f16_e32 v163, v187, v163
	v_fma_f16 v187, v92, s16, v188
	v_add_f16_e32 v165, v187, v165
	v_mul_f16_sdwa v187, v92, s28 dst_sel:DWORD dst_unused:UNUSED_PAD src0_sel:WORD_1 src1_sel:DWORD
	v_add_f16_e32 v162, v189, v162
	;; [unrolled: 10-line block ×4, first 2 shown]
	v_fma_f16 v189, v92, s18, v188
	v_fma_f16 v188, v185, s2, v187
	v_add_f16_e32 v176, v188, v176
	v_mul_f16_sdwa v188, v185, s2 dst_sel:DWORD dst_unused:UNUSED_PAD src0_sel:WORD_1 src1_sel:DWORD
	v_fma_f16 v187, v185, s2, -v187
	v_add_f16_e32 v175, v187, v175
	v_fma_f16 v187, v92, s4, v188
	v_add_f16_e32 v177, v187, v177
	v_pk_add_f16 v187, v90, v87
	v_pk_add_f16 v87, v87, v90 neg_lo:[0,1] neg_hi:[0,1]
	v_pk_mul_f16 v90, v87, s23 op_sel_hi:[1,0]
	v_add_f16_e32 v174, v189, v174
	v_fma_f16 v189, v92, s34, v188
	v_pk_fma_f16 v188, v187, s19, v90 op_sel:[0,0,1] op_sel_hi:[1,0,0]
	v_pk_fma_f16 v90, v187, s19, v90 op_sel:[0,0,1] op_sel_hi:[1,0,0] neg_lo:[0,0,1] neg_hi:[0,0,1]
	v_add_f16_e32 v178, v189, v178
	v_bfi_b32 v189, s0, v188, v90
	v_pk_add_f16 v154, v189, v154
	v_mul_f16_sdwa v189, v87, s26 dst_sel:DWORD dst_unused:UNUSED_PAD src0_sel:WORD_1 src1_sel:DWORD
	v_fma_f16 v190, v187, s17, v189
	v_add_f16_e32 v156, v190, v156
	v_mul_f16_sdwa v190, v187, s17 dst_sel:DWORD dst_unused:UNUSED_PAD src0_sel:WORD_1 src1_sel:DWORD
	v_fma_f16 v189, v187, s17, -v189
	v_add_f16_e32 v155, v189, v155
	v_fma_f16 v189, v87, s26, v190
	v_add_f16_e32 v157, v189, v157
	v_mul_f16_sdwa v189, v87, s4 dst_sel:DWORD dst_unused:UNUSED_PAD src0_sel:WORD_1 src1_sel:DWORD
	v_fma_f16 v191, v87, s20, v190
	v_fma_f16 v190, v187, s2, v189
	v_add_f16_e32 v160, v190, v160
	v_mul_f16_sdwa v190, v187, s2 dst_sel:DWORD dst_unused:UNUSED_PAD src0_sel:WORD_1 src1_sel:DWORD
	v_fma_f16 v189, v187, s2, -v189
	v_add_f16_e32 v159, v189, v159
	v_fma_f16 v189, v87, s4, v190
	v_add_f16_e32 v161, v189, v161
	v_mul_f16_sdwa v189, v87, s24 dst_sel:DWORD dst_unused:UNUSED_PAD src0_sel:WORD_1 src1_sel:DWORD
	v_add_f16_e32 v158, v191, v158
	v_fma_f16 v191, v87, s34, v190
	v_fma_f16 v190, v187, s22, v189
	v_add_f16_e32 v164, v190, v164
	v_mul_f16_sdwa v190, v187, s22 dst_sel:DWORD dst_unused:UNUSED_PAD src0_sel:WORD_1 src1_sel:DWORD
	v_fma_f16 v189, v187, s22, -v189
	v_add_f16_e32 v163, v189, v163
	v_fma_f16 v189, v87, s24, v190
	v_add_f16_e32 v165, v189, v165
	v_mul_f16_sdwa v189, v87, s31 dst_sel:DWORD dst_unused:UNUSED_PAD src0_sel:WORD_1 src1_sel:DWORD
	v_add_f16_e32 v162, v191, v162
	;; [unrolled: 10-line block ×4, first 2 shown]
	v_fma_f16 v191, v87, s25, v190
	v_fma_f16 v190, v187, s27, v189
	v_add_f16_e32 v176, v190, v176
	v_mul_f16_sdwa v190, v187, s27 dst_sel:DWORD dst_unused:UNUSED_PAD src0_sel:WORD_1 src1_sel:DWORD
	v_fma_f16 v189, v187, s27, -v189
	v_add_f16_e32 v175, v189, v175
	v_fma_f16 v189, v87, s28, v190
	v_add_f16_e32 v177, v189, v177
	v_pk_add_f16 v189, v89, v88
	v_pk_add_f16 v88, v88, v89 neg_lo:[0,1] neg_hi:[0,1]
	v_pk_mul_f16 v89, v88, s24 op_sel_hi:[1,0]
	v_add_f16_e32 v174, v191, v174
	v_fma_f16 v191, v87, s33, v190
	v_pk_fma_f16 v190, v189, s22, v89 op_sel:[0,0,1] op_sel_hi:[1,0,0]
	v_pk_fma_f16 v89, v189, s22, v89 op_sel:[0,0,1] op_sel_hi:[1,0,0] neg_lo:[0,0,1] neg_hi:[0,0,1]
	v_add_f16_e32 v178, v191, v178
	v_bfi_b32 v191, s0, v190, v89
	v_pk_add_f16 v154, v191, v154
	v_mul_f16_sdwa v191, v88, s21 dst_sel:DWORD dst_unused:UNUSED_PAD src0_sel:WORD_1 src1_sel:DWORD
	v_fma_f16 v192, v189, s5, v191
	v_add_f16_e32 v156, v192, v156
	v_mul_f16_sdwa v192, v189, s5 dst_sel:DWORD dst_unused:UNUSED_PAD src0_sel:WORD_1 src1_sel:DWORD
	v_fma_f16 v191, v189, s5, -v191
	v_add_f16_e32 v155, v191, v155
	v_fma_f16 v191, v88, s21, v192
	v_add_f16_e32 v157, v191, v157
	v_mul_f16_sdwa v191, v88, s18 dst_sel:DWORD dst_unused:UNUSED_PAD src0_sel:WORD_1 src1_sel:DWORD
	v_fma_f16 v193, v88, s16, v192
	v_fma_f16 v192, v189, s13, v191
	v_add_f16_e32 v160, v192, v160
	v_mul_f16_sdwa v192, v189, s13 dst_sel:DWORD dst_unused:UNUSED_PAD src0_sel:WORD_1 src1_sel:DWORD
	v_fma_f16 v191, v189, s13, -v191
	v_add_f16_e32 v159, v191, v159
	v_fma_f16 v191, v88, s18, v192
	v_add_f16_e32 v161, v191, v161
	v_mul_f16_sdwa v191, v88, s30 dst_sel:DWORD dst_unused:UNUSED_PAD src0_sel:WORD_1 src1_sel:DWORD
	v_add_f16_e32 v158, v193, v158
	v_fma_f16 v193, v88, s31, v192
	v_fma_f16 v192, v189, s19, v191
	v_add_f16_e32 v164, v192, v164
	v_mul_f16_sdwa v192, v189, s19 dst_sel:DWORD dst_unused:UNUSED_PAD src0_sel:WORD_1 src1_sel:DWORD
	v_fma_f16 v191, v189, s19, -v191
	v_add_f16_e32 v163, v191, v163
	v_fma_f16 v191, v88, s30, v192
	v_add_f16_e32 v165, v191, v165
	v_mul_f16_sdwa v191, v88, s4 dst_sel:DWORD dst_unused:UNUSED_PAD src0_sel:WORD_1 src1_sel:DWORD
	v_add_f16_e32 v162, v193, v162
	v_fma_f16 v193, v88, s23, v192
	v_fma_f16 v192, v189, s2, v191
	v_add_f16_e32 v168, v192, v168
	v_mul_f16_sdwa v192, v189, s2 dst_sel:DWORD dst_unused:UNUSED_PAD src0_sel:WORD_1 src1_sel:DWORD
	v_fma_f16 v191, v189, s2, -v191
	v_add_f16_e32 v167, v191, v167
	v_fma_f16 v191, v88, s4, v192
	v_add_f16_e32 v169, v191, v169
	v_mul_f16_sdwa v191, v88, s28 dst_sel:DWORD dst_unused:UNUSED_PAD src0_sel:WORD_1 src1_sel:DWORD
	v_add_f16_e32 v166, v193, v166
	v_fma_f16 v193, v88, s34, v192
	v_fma_f16 v192, v189, s27, v191
	v_add_f16_e32 v172, v192, v172
	v_mul_f16_sdwa v192, v189, s27 dst_sel:DWORD dst_unused:UNUSED_PAD src0_sel:WORD_1 src1_sel:DWORD
	v_fma_f16 v191, v189, s27, -v191
	v_add_f16_e32 v171, v191, v171
	v_fma_f16 v191, v88, s28, v192
	v_add_f16_e32 v173, v191, v173
	v_mul_f16_sdwa v191, v88, s25 dst_sel:DWORD dst_unused:UNUSED_PAD src0_sel:WORD_1 src1_sel:DWORD
	v_add_f16_e32 v170, v193, v170
	v_fma_f16 v193, v88, s33, v192
	v_fma_f16 v192, v189, s3, v191
	v_add_f16_e32 v176, v192, v176
	v_mul_f16_sdwa v192, v189, s3 dst_sel:DWORD dst_unused:UNUSED_PAD src0_sel:WORD_1 src1_sel:DWORD
	v_fma_f16 v191, v189, s3, -v191
	v_add_f16_e32 v175, v191, v175
	v_fma_f16 v191, v88, s25, v192
	v_add_f16_e32 v177, v191, v177
	v_pk_add_f16 v191, v86, v85
	v_pk_add_f16 v85, v85, v86 neg_lo:[0,1] neg_hi:[0,1]
	v_pk_mul_f16 v86, v85, s28 op_sel_hi:[1,0]
	v_add_f16_e32 v174, v193, v174
	v_fma_f16 v193, v88, s12, v192
	v_pk_fma_f16 v192, v191, s27, v86 op_sel:[0,0,1] op_sel_hi:[1,0,0]
	v_pk_fma_f16 v86, v191, s27, v86 op_sel:[0,0,1] op_sel_hi:[1,0,0] neg_lo:[0,0,1] neg_hi:[0,0,1]
	v_add_f16_e32 v178, v193, v178
	v_bfi_b32 v193, s0, v192, v86
	v_pk_add_f16 v154, v193, v154
	v_mul_f16_sdwa v193, v85, s34 dst_sel:DWORD dst_unused:UNUSED_PAD src0_sel:WORD_1 src1_sel:DWORD
	v_fma_f16 v194, v191, s2, v193
	v_add_f16_e32 v156, v194, v156
	v_mul_f16_sdwa v194, v191, s2 dst_sel:DWORD dst_unused:UNUSED_PAD src0_sel:WORD_1 src1_sel:DWORD
	v_fma_f16 v193, v191, s2, -v193
	v_add_f16_e32 v155, v193, v155
	v_fma_f16 v193, v85, s34, v194
	v_add_f16_e32 v157, v193, v157
	v_mul_f16_sdwa v193, v85, s24 dst_sel:DWORD dst_unused:UNUSED_PAD src0_sel:WORD_1 src1_sel:DWORD
	v_fma_f16 v195, v85, s4, v194
	v_fma_f16 v194, v191, s22, v193
	v_add_f16_e32 v160, v194, v160
	v_mul_f16_sdwa v194, v191, s22 dst_sel:DWORD dst_unused:UNUSED_PAD src0_sel:WORD_1 src1_sel:DWORD
	v_fma_f16 v193, v191, s22, -v193
	v_add_f16_e32 v159, v193, v159
	v_fma_f16 v193, v85, s24, v194
	v_add_f16_e32 v161, v193, v161
	v_mul_f16_sdwa v193, v85, s25 dst_sel:DWORD dst_unused:UNUSED_PAD src0_sel:WORD_1 src1_sel:DWORD
	v_add_f16_e32 v158, v195, v158
	v_fma_f16 v195, v85, s29, v194
	v_fma_f16 v194, v191, s3, v193
	v_add_f16_e32 v164, v194, v164
	v_mul_f16_sdwa v194, v191, s3 dst_sel:DWORD dst_unused:UNUSED_PAD src0_sel:WORD_1 src1_sel:DWORD
	v_fma_f16 v193, v191, s3, -v193
	v_add_f16_e32 v163, v193, v163
	v_fma_f16 v193, v85, s25, v194
	v_add_f16_e32 v165, v193, v165
	v_mul_f16_sdwa v193, v85, s23 dst_sel:DWORD dst_unused:UNUSED_PAD src0_sel:WORD_1 src1_sel:DWORD
	v_add_f16_e32 v162, v195, v162
	;; [unrolled: 10-line block ×4, first 2 shown]
	v_fma_f16 v195, v85, s16, v194
	v_fma_f16 v194, v191, s17, v193
	v_add_f16_e32 v176, v194, v176
	v_mul_f16_sdwa v194, v191, s17 dst_sel:DWORD dst_unused:UNUSED_PAD src0_sel:WORD_1 src1_sel:DWORD
	s_waitcnt lgkmcnt(0)
	; wave barrier
	v_add_f16_e32 v174, v195, v174
	v_fma_f16 v195, v85, s26, v194
	ds_write2_b32 v119, v153, v154 offset1:1
	v_pack_b32_f16 v153, v160, v162
	v_pack_b32_f16 v154, v156, v158
	v_add_f16_e32 v178, v195, v178
	ds_write2_b32 v119, v154, v153 offset0:2 offset1:3
	v_pack_b32_f16 v153, v168, v170
	v_pack_b32_f16 v154, v164, v166
	ds_write2_b32 v119, v154, v153 offset0:4 offset1:5
	v_pack_b32_f16 v153, v176, v178
	v_pack_b32_f16 v154, v172, v174
	v_pk_mul_f16 v152, v152, s27 op_sel_hi:[1,0]
	ds_write2_b32 v119, v154, v153 offset0:6 offset1:7
	v_pk_fma_f16 v153, v151, s28, v152 op_sel:[0,0,1] op_sel_hi:[1,0,0]
	v_pk_fma_f16 v151, v151, s28, v152 op_sel:[0,0,1] op_sel_hi:[1,0,0] neg_lo:[1,0,0] neg_hi:[1,0,0]
	v_alignbit_b32 v152, s0, v83, 16
	v_alignbit_b32 v154, s0, v153, 16
	v_pk_add_f16 v152, v152, v153
	v_pk_mul_f16 v153, v179, s2 op_sel_hi:[1,0]
	v_pk_add_f16 v151, v83, v151 op_sel:[1,0] op_sel_hi:[0,1]
	v_pk_fma_f16 v156, v180, s34, v153 op_sel:[0,0,1] op_sel_hi:[1,0,0]
	v_pk_fma_f16 v153, v180, s34, v153 op_sel:[0,0,1] op_sel_hi:[1,0,0] neg_lo:[1,0,0] neg_hi:[1,0,0]
	v_pk_add_f16 v151, v153, v151
	v_pk_mul_f16 v153, v181, s22 op_sel_hi:[1,0]
	v_alignbit_b32 v158, s0, v156, 16
	v_pk_add_f16 v152, v156, v152
	v_pk_fma_f16 v156, v96, s24, v153 op_sel:[0,0,1] op_sel_hi:[1,0,0]
	v_pk_fma_f16 v96, v96, s24, v153 op_sel:[0,0,1] op_sel_hi:[1,0,0] neg_lo:[1,0,0] neg_hi:[1,0,0]
	v_pk_add_f16 v96, v96, v151
	v_pk_add_f16 v151, v156, v152
	v_pk_mul_f16 v152, v183, s3 op_sel_hi:[1,0]
	v_pk_fma_f16 v153, v91, s25, v152 op_sel:[0,0,1] op_sel_hi:[1,0,0]
	v_pk_fma_f16 v91, v91, s25, v152 op_sel:[0,0,1] op_sel_hi:[1,0,0] neg_lo:[1,0,0] neg_hi:[1,0,0]
	v_pk_add_f16 v91, v91, v96
	v_pk_add_f16 v96, v153, v151
	v_pk_mul_f16 v151, v185, s19 op_sel_hi:[1,0]
	v_pk_fma_f16 v152, v92, s23, v151 op_sel:[0,0,1] op_sel_hi:[1,0,0]
	v_pk_fma_f16 v92, v92, s23, v151 op_sel:[0,0,1] op_sel_hi:[1,0,0] neg_lo:[1,0,0] neg_hi:[1,0,0]
	v_pk_add_f16 v154, v83, v154
	v_pk_add_f16 v91, v92, v91
	;; [unrolled: 1-line block ×3, first 2 shown]
	v_pk_mul_f16 v96, v187, s5 op_sel_hi:[1,0]
	v_pk_add_f16 v154, v158, v154
	v_alignbit_b32 v158, s0, v156, 16
	v_pk_fma_f16 v151, v87, s21, v96 op_sel:[0,0,1] op_sel_hi:[1,0,0]
	v_pk_fma_f16 v87, v87, s21, v96 op_sel:[0,0,1] op_sel_hi:[1,0,0] neg_lo:[1,0,0] neg_hi:[1,0,0]
	v_pk_add_f16 v154, v158, v154
	v_alignbit_b32 v156, s0, v153, 16
	v_pk_add_f16 v87, v87, v91
	v_pk_add_f16 v91, v151, v92
	v_pk_mul_f16 v92, v189, s17 op_sel_hi:[1,0]
	v_pk_add_f16 v154, v156, v154
	v_alignbit_b32 v153, s0, v152, 16
	v_pk_fma_f16 v96, v88, s20, v92 op_sel:[0,0,1] op_sel_hi:[1,0,0]
	v_pk_fma_f16 v88, v88, s20, v92 op_sel:[0,0,1] op_sel_hi:[1,0,0] neg_lo:[1,0,0] neg_hi:[1,0,0]
	v_bfi_b32 v84, s0, v150, v84
	v_pk_add_f16 v153, v153, v154
	v_alignbit_b32 v152, s0, v151, 16
	v_pk_add_f16 v87, v88, v87
	v_pk_add_f16 v88, v96, v91
	v_pk_mul_f16 v91, v191, s13 op_sel_hi:[1,0]
	v_pk_add_f16 v83, v83, v84
	v_bfi_b32 v84, s0, v98, v95
	v_fma_f16 v193, v191, s17, -v193
	v_pk_add_f16 v152, v152, v153
	v_alignbit_b32 v151, s0, v96, 16
	v_pk_fma_f16 v92, v85, s31, v91 op_sel:[0,0,1] op_sel_hi:[1,0,0]
	v_pk_add_f16 v83, v84, v83
	v_bfi_b32 v84, s0, v97, v182
	v_add_f16_e32 v175, v193, v175
	v_fma_f16 v193, v85, s20, v194
	v_pk_add_f16 v151, v151, v152
	v_alignbit_b32 v96, s0, v92, 16
	v_pk_fma_f16 v85, v85, s31, v91 op_sel:[0,0,1] op_sel_hi:[1,0,0] neg_lo:[1,0,0] neg_hi:[1,0,0]
	v_pk_add_f16 v83, v84, v83
	v_bfi_b32 v84, s0, v94, v184
	v_pk_add_f16 v96, v96, v151
	v_pk_add_f16 v85, v85, v87
	;; [unrolled: 1-line block ×4, first 2 shown]
	v_bfi_b32 v84, s0, v93, v186
	v_add_f16_e32 v177, v193, v177
	v_alignbit_b32 v87, v87, v85, 16
	v_pack_b32_f16 v85, v96, v85
	v_pk_add_f16 v83, v84, v83
	v_bfi_b32 v84, s0, v90, v188
	ds_write2_b32 v119, v85, v87 offset0:8 offset1:9
	v_pack_b32_f16 v85, v171, v173
	v_pack_b32_f16 v87, v175, v177
	v_pk_add_f16 v83, v84, v83
	v_bfi_b32 v84, s0, v89, v190
	ds_write2_b32 v119, v87, v85 offset0:10 offset1:11
	v_pack_b32_f16 v85, v163, v165
	;; [unrolled: 5-line block ×3, first 2 shown]
	v_pack_b32_f16 v87, v159, v161
	v_pk_add_f16 v83, v84, v83
	ds_write2_b32 v119, v87, v85 offset0:14 offset1:15
	ds_write_b32 v119, v83 offset:64
	s_and_saveexec_b64 s[0:1], vcc
	s_cbranch_execz .LBB0_13
; %bb.12:
	v_sub_f16_e32 v84, v68, v18
	v_mul_f16_e32 v155, 0xb836, v84
	v_add_f16_e32 v157, v120, v135
	v_sub_f16_e32 v85, v69, v82
	v_fma_f16 v83, v157, s22, v155
	v_mul_f16_e32 v156, 0x3b29, v85
	v_add_f16_e32 v158, v149, v136
	v_add_f16_e32 v83, v134, v83
	v_fma_f16 v86, v158, s5, v156
	v_add_f16_e32 v83, v86, v83
	v_sub_f16_e32 v86, v70, v81
	v_mul_f16_e32 v159, 0xbbf7, v86
	v_add_f16_e32 v160, v148, v137
	v_fma_f16 v87, v160, s13, v159
	v_add_f16_e32 v83, v87, v83
	v_sub_f16_e32 v87, v71, v80
	v_mul_f16_e32 v161, 0x3a62, v87
	;; [unrolled: 5-line block ×6, first 2 shown]
	v_add_f16_e32 v170, v143, v142
	v_fma_f16 v92, v170, s17, v169
	v_sub_f16_e32 v171, v135, v120
	v_add_f16_e32 v83, v92, v83
	v_add_f16_e32 v92, v18, v68
	v_mul_f16_e32 v172, 0xb836, v171
	v_fma_f16 v93, v92, s22, -v172
	v_sub_f16_e32 v173, v136, v149
	v_add_f16_e32 v94, v67, v93
	v_add_f16_e32 v93, v82, v69
	v_mul_f16_e32 v174, 0x3b29, v173
	v_fma_f16 v95, v93, s5, -v174
	;; [unrolled: 5-line block ×8, first 2 shown]
	v_mul_f16_e32 v153, 0xb1e1, v84
	buffer_store_dword v83, off, s[44:47], 0 offset:4 ; 4-byte Folded Spill
	v_add_f16_e32 v83, v151, v94
	v_fma_f16 v151, v157, s27, v153
	v_mul_f16_e32 v154, 0x35c8, v85
	v_add_f16_e32 v151, v134, v151
	v_fma_f16 v152, v158, s2, v154
	v_mul_f16_e32 v187, 0xb836, v86
	;; [unrolled: 3-line block ×8, first 2 shown]
	buffer_store_dword v83, off, s[44:47], 0 offset:8 ; 4-byte Folded Spill
	v_add_f16_e32 v83, v152, v151
	v_fma_f16 v152, v92, s27, -v193
	v_mul_f16_e32 v194, 0x35c8, v173
	v_add_f16_e32 v152, v67, v152
	v_fma_f16 v195, v93, s2, -v194
	v_add_f16_e32 v152, v195, v152
	v_mul_f16_e32 v195, 0xb836, v175
	v_fma_f16 v196, v95, s22, -v195
	v_add_f16_e32 v152, v196, v152
	v_mul_f16_e32 v196, 0x3964, v177
	;; [unrolled: 3-line block ×3, first 2 shown]
	v_fma_f16 v198, v97, s19, -v197
	v_fma_f16 v153, v157, s27, -v153
	v_add_f16_e32 v152, v198, v152
	v_mul_f16_e32 v198, 0x3b29, v181
	v_add_f16_e32 v153, v134, v153
	v_fma_f16 v154, v158, s2, -v154
	v_fma_f16 v199, v98, s5, -v198
	v_add_f16_e32 v153, v154, v153
	v_fma_f16 v154, v160, s22, -v187
	v_add_f16_e32 v152, v199, v152
	v_mul_f16_e32 v199, 0xbbb2, v183
	v_add_f16_e32 v153, v154, v153
	v_fma_f16 v154, v162, s3, -v188
	v_fma_f16 v200, v119, s17, -v199
	v_add_f16_e32 v153, v154, v153
	;; [unrolled: 7-line block ×3, first 2 shown]
	v_fma_f16 v154, v168, s17, -v191
	buffer_store_dword v83, off, s[44:47], 0 offset:12 ; 4-byte Folded Spill
	v_add_f16_e32 v83, v201, v152
	v_add_f16_e32 v153, v154, v153
	v_fma_f16 v154, v170, s13, -v192
	buffer_store_dword v83, off, s[44:47], 0 offset:16 ; 4-byte Folded Spill
	v_add_f16_e32 v83, v154, v153
	v_fma_f16 v154, v92, s27, v193
	v_add_f16_e32 v154, v67, v154
	v_fma_f16 v187, v93, s2, v194
	v_fma_f16 v155, v157, s22, -v155
	v_add_f16_e32 v154, v187, v154
	v_fma_f16 v187, v95, s22, v195
	v_add_f16_e32 v155, v134, v155
	v_fma_f16 v156, v158, s5, -v156
	v_add_f16_e32 v154, v187, v154
	v_fma_f16 v187, v96, s3, v196
	v_add_f16_e32 v155, v156, v155
	;; [unrolled: 4-line block ×6, first 2 shown]
	v_fma_f16 v156, v168, s3, -v167
	buffer_store_dword v83, off, s[44:47], 0 offset:20 ; 4-byte Folded Spill
	v_add_f16_e32 v83, v187, v154
	v_add_f16_e32 v155, v156, v155
	v_fma_f16 v156, v170, s17, -v169
	buffer_store_dword v83, off, s[44:47], 0 offset:24 ; 4-byte Folded Spill
	v_add_f16_e32 v83, v156, v155
	v_fma_f16 v156, v92, s22, v172
	v_add_f16_e32 v156, v67, v156
	v_fma_f16 v159, v93, s5, v174
	;; [unrolled: 2-line block ×8, first 2 shown]
	buffer_store_dword v83, off, s[44:47], 0 offset:28 ; 4-byte Folded Spill
	v_add_f16_e32 v83, v159, v156
	v_mul_f16_e32 v159, 0xb8d2, v157
	v_fma_f16 v161, v84, s30, v159
	v_mul_f16_e32 v163, 0xb461, v158
	v_add_f16_e32 v161, v134, v161
	v_fma_f16 v165, v85, s20, v163
	v_add_f16_e32 v161, v165, v161
	v_mul_f16_e32 v165, 0x3b76, v160
	v_fma_f16 v167, v86, s34, v165
	v_add_f16_e32 v161, v167, v161
	v_mul_f16_e32 v167, 0xbacd, v162
	v_fma_f16 v169, v87, s29, v167
	v_add_f16_e32 v161, v169, v161
	v_mul_f16_e32 v169, 0x2de8, v164
	v_fma_f16 v172, v88, s18, v169
	v_add_f16_e32 v161, v172, v161
	v_mul_f16_e32 v172, 0x39e9, v166
	v_fma_f16 v174, v89, s25, v172
	v_add_f16_e32 v161, v174, v161
	v_mul_f16_e32 v174, 0xbbdd, v168
	v_fma_f16 v176, v90, s33, v174
	v_add_f16_e32 v161, v176, v161
	v_mul_f16_e32 v176, 0x3722, v170
	v_fma_f16 v178, v91, s16, v176
	buffer_store_dword v83, off, s[44:47], 0 offset:32 ; 4-byte Folded Spill
	v_add_f16_e32 v83, v178, v161
	v_mul_f16_e32 v178, 0xba62, v171
	v_fma_f16 v180, v92, s19, v178
	v_mul_f16_e32 v182, 0x3bb2, v173
	v_add_f16_e32 v180, v67, v180
	v_fma_f16 v184, v93, s17, v182
	v_add_f16_e32 v180, v184, v180
	v_mul_f16_e32 v184, 0xb5c8, v175
	v_fma_f16 v186, v95, s2, v184
	v_add_f16_e32 v180, v186, v180
	v_mul_f16_e32 v186, 0xb836, v177
	v_fma_f16 v187, v96, s22, v186
	v_add_f16_e32 v180, v187, v180
	v_mul_f16_e32 v187, 0x3bf7, v179
	v_fma_f16 v188, v97, s13, v187
	v_add_f16_e32 v180, v188, v180
	v_mul_f16_e32 v188, 0xb964, v181
	v_fma_f16 v189, v98, s3, v188
	v_add_f16_e32 v180, v189, v180
	v_mul_f16_e32 v189, 0xb1e1, v183
	v_fma_f16 v190, v119, s27, v189
	v_add_f16_e32 v180, v190, v180
	v_mul_f16_e32 v190, 0x3b29, v185
	v_fma_f16 v191, v150, s5, v190
	buffer_store_dword v83, off, s[44:47], 0 offset:36 ; 4-byte Folded Spill
	v_add_f16_e32 v83, v191, v180
	v_mul_f16_e32 v191, 0xb461, v157
	v_fma_f16 v192, v84, s26, v191
	v_mul_f16_e32 v193, 0xbacd, v158
	v_add_f16_e32 v192, v134, v192
	v_fma_f16 v194, v85, s24, v193
	v_add_f16_e32 v192, v194, v192
	v_mul_f16_e32 v194, 0x39e9, v160
	v_fma_f16 v195, v86, s12, v194
	v_add_f16_e32 v192, v195, v192
	v_mul_f16_e32 v195, 0x3722, v162
	v_fma_f16 v196, v87, s21, v195
	v_add_f16_e32 v192, v196, v192
	v_mul_f16_e32 v196, 0xbbdd, v164
	v_fma_f16 v197, v88, s33, v196
	v_add_f16_e32 v192, v197, v192
	v_mul_f16_e32 v197, 0x2de8, v166
	v_fma_f16 v198, v89, s18, v197
	v_add_f16_e32 v192, v198, v192
	v_mul_f16_e32 v198, 0x3b76, v168
	v_fma_f16 v199, v90, s34, v198
	v_add_f16_e32 v192, v199, v192
	v_mul_f16_e32 v199, 0xb8d2, v170
	v_fma_f16 v200, v91, s30, v199
	buffer_store_dword v83, off, s[44:47], 0 offset:40 ; 4-byte Folded Spill
	v_add_f16_e32 v83, v200, v192
	v_mul_f16_e32 v200, 0xbbb2, v171
	v_fma_f16 v201, v92, s17, v200
	v_mul_f16_e32 v202, 0x3836, v173
	v_add_f16_e32 v201, v67, v201
	v_fma_f16 v203, v93, s22, v202
	v_add_f16_e32 v201, v203, v201
	v_mul_f16_e32 v203, 0x3964, v175
	v_fma_f16 v204, v95, s3, v203
	v_add_f16_e32 v201, v204, v201
	v_mul_f16_e32 v204, 0xbb29, v177
	;; [unrolled: 3-line block ×4, first 2 shown]
	v_mov_b32_e32 v154, v207
	v_fma_f16 v207, v98, s13, v206
	v_add_f16_e32 v201, v207, v201
	v_mul_f16_e32 v207, 0xb5c8, v183
	v_mov_b32_e32 v153, v208
	v_fma_f16 v208, v119, s2, v207
	v_add_f16_e32 v201, v208, v201
	v_mul_f16_e32 v208, 0xba62, v185
	buffer_store_dword v100, off, s[44:47], 0 ; 4-byte Folded Spill
	v_mov_b32_e32 v100, v110
	v_mov_b32_e32 v110, v109
	;; [unrolled: 1-line block ×11, first 2 shown]
	v_fma_f16 v209, v150, s19, v208
	buffer_store_dword v83, off, s[44:47], 0 offset:44 ; 4-byte Folded Spill
	v_add_f16_e32 v83, v209, v201
	v_mul_f16_e32 v209, 0x2de8, v157
	v_mov_b32_e32 v192, v210
	v_fma_f16 v210, v84, s31, v209
	v_mul_f16_e32 v211, 0xbbdd, v158
	v_add_f16_e32 v210, v134, v210
	v_mov_b32_e32 v151, v212
	v_fma_f16 v212, v85, s33, v211
	v_add_f16_e32 v210, v212, v210
	v_mul_f16_e32 v212, 0xb461, v160
	v_mov_b32_e32 v94, v213
	v_fma_f16 v213, v86, s20, v212
	v_add_f16_e32 v210, v213, v210
	v_mul_f16_e32 v213, 0x3b76, v162
	;; [unrolled: 4-line block ×3, first 2 shown]
	buffer_store_dword v83, off, s[44:47], 0 offset:48 ; 4-byte Folded Spill
	v_mov_b32_e32 v83, v215
	v_fma_f16 v215, v88, s21, v214
	v_add_f16_e32 v210, v215, v210
	v_mul_f16_e32 v215, 0xbacd, v166
	v_fma_f16 v216, v89, s29, v215
	v_add_f16_e32 v210, v216, v210
	v_mul_f16_e32 v216, 0xb8d2, v168
	;; [unrolled: 3-line block ×4, first 2 shown]
	v_mov_b32_e32 v156, v219
	v_fma_f16 v219, v92, s13, v218
	v_mul_f16_e32 v220, 0xb1e1, v173
	v_add_f16_e32 v219, v67, v219
	v_fma_f16 v221, v93, s27, v220
	v_add_f16_e32 v219, v221, v219
	v_mul_f16_e32 v221, 0x3bb2, v175
	v_fma_f16 v222, v95, s17, v221
	v_add_f16_e32 v219, v222, v219
	v_mul_f16_e32 v222, 0x35c8, v177
	;; [unrolled: 3-line block ×3, first 2 shown]
	v_add_f16_e32 v68, v68, v67
	v_fma_f16 v224, v97, s5, v223
	v_add_f16_e32 v68, v69, v68
	v_add_f16_e32 v219, v224, v219
	v_mul_f16_e32 v224, 0xb836, v181
	v_add_f16_e32 v68, v70, v68
	v_fma_f16 v70, v84, s23, v159
	v_fma_f16 v225, v98, s22, v224
	v_add_f16_e32 v68, v71, v68
	v_add_f16_e32 v70, v134, v70
	v_fma_f16 v71, v85, s26, v163
	v_add_f16_e32 v219, v225, v219
	v_mul_f16_e32 v225, 0x3a62, v183
	v_add_f16_e32 v70, v71, v70
	v_fma_f16 v71, v86, s4, v165
	v_fma_f16 v226, v119, s19, v225
	v_add_f16_e32 v70, v71, v70
	v_fma_f16 v71, v87, s24, v167
	v_add_f16_e32 v219, v226, v219
	v_mul_f16_e32 v226, 0x3964, v185
	v_add_f16_e32 v70, v71, v70
	v_fma_f16 v71, v88, s31, v169
	v_fma_f16 v227, v150, s3, v226
	v_add_f16_e32 v70, v71, v70
	v_fma_f16 v71, v89, s12, v172
	v_add_f16_e32 v201, v227, v219
	v_mul_f16_e32 v227, 0x3722, v157
	v_add_f16_e32 v70, v71, v70
	v_fma_f16 v71, v90, s28, v174
	v_mov_b32_e32 v155, v228
	v_fma_f16 v228, v84, s21, v227
	v_mul_f16_e32 v229, 0xb8d2, v158
	v_add_f16_e32 v70, v71, v70
	v_fma_f16 v71, v91, s21, v176
	v_add_f16_e32 v228, v134, v228
	v_fma_f16 v230, v85, s30, v229
	v_add_f16_e32 v70, v71, v70
	v_fma_f16 v71, v92, s19, -v178
	v_add_f16_e32 v228, v230, v228
	v_mul_f16_e32 v230, 0xbbdd, v160
	v_add_f16_e32 v68, v72, v68
	v_add_f16_e32 v71, v67, v71
	v_fma_f16 v72, v93, s17, -v182
	v_fma_f16 v231, v86, s28, v230
	v_add_f16_e32 v71, v72, v71
	v_fma_f16 v72, v95, s2, -v184
	v_add_f16_e32 v228, v231, v228
	v_mul_f16_e32 v231, 0xb461, v162
	v_add_f16_e32 v71, v72, v71
	v_fma_f16 v72, v96, s22, -v186
	v_fma_f16 v232, v87, s20, v231
	v_add_f16_e32 v71, v72, v71
	v_fma_f16 v72, v97, s13, -v187
	v_add_f16_e32 v228, v232, v228
	v_mul_f16_e32 v232, 0x39e9, v164
	;; [unrolled: 7-line block ×3, first 2 shown]
	v_add_f16_e32 v71, v72, v71
	v_fma_f16 v72, v150, s5, -v190
	v_fma_f16 v234, v89, s34, v233
	v_add_f16_e32 v71, v72, v71
	v_fma_f16 v72, v84, s20, v191
	v_add_f16_e32 v228, v234, v228
	v_mul_f16_e32 v234, 0x2de8, v168
	v_add_f16_e32 v68, v73, v68
	v_add_f16_e32 v72, v134, v72
	v_fma_f16 v73, v85, s29, v193
	v_fma_f16 v235, v90, s31, v234
	v_add_f16_e32 v72, v73, v72
	v_fma_f16 v73, v86, s25, v194
	v_add_f16_e32 v228, v235, v228
	v_mul_f16_e32 v235, 0xbacd, v170
	v_add_f16_e32 v72, v73, v72
	v_fma_f16 v73, v87, s16, v195
	v_fma_f16 v236, v91, s29, v235
	v_add_f16_e32 v72, v73, v72
	v_fma_f16 v73, v88, s28, v196
	v_add_f16_e32 v180, v236, v228
	v_mul_f16_e32 v236, 0xbb29, v171
	v_add_f16_e32 v72, v73, v72
	v_fma_f16 v73, v89, s31, v197
	v_mov_b32_e32 v152, v237
	v_fma_f16 v237, v92, s5, v236
	v_mul_f16_e32 v238, 0xba62, v173
	v_add_f16_e32 v72, v73, v72
	v_fma_f16 v73, v90, s4, v198
	v_add_f16_e32 v237, v67, v237
	v_fma_f16 v239, v93, s19, v238
	;; [unrolled: 2-line block ×3, first 2 shown]
	v_add_f16_e32 v237, v239, v237
	v_mul_f16_e32 v239, 0x31e1, v175
	v_add_f16_e32 v72, v73, v72
	v_fma_f16 v73, v92, s17, -v200
	v_fma_f16 v240, v95, s27, v239
	v_add_f16_e32 v68, v74, v68
	v_add_f16_e32 v73, v67, v73
	v_fma_f16 v74, v93, s22, -v202
	v_add_f16_e32 v237, v240, v237
	v_mul_f16_e32 v240, 0x3bb2, v177
	v_add_f16_e32 v73, v74, v73
	v_fma_f16 v74, v95, s3, -v203
	v_fma_f16 v241, v96, s17, v240
	v_add_f16_e32 v73, v74, v73
	v_fma_f16 v74, v96, s5, -v204
	v_add_f16_e32 v237, v241, v237
	v_mul_f16_e32 v241, 0x3964, v179
	v_add_f16_e32 v73, v74, v73
	v_fma_f16 v74, v97, s27, -v205
	v_fma_f16 v242, v97, s3, v241
	;; [unrolled: 7-line block ×3, first 2 shown]
	v_add_f16_e32 v73, v74, v73
	v_fma_f16 v74, v150, s19, -v208
	v_add_f16_e32 v237, v243, v237
	v_mul_f16_e32 v243, 0xbbf7, v183
	v_add_f16_e32 v73, v74, v73
	v_fma_f16 v74, v84, s18, v209
	v_fma_f16 v244, v119, s13, v243
	v_add_f16_e32 v68, v75, v68
	v_add_f16_e32 v74, v134, v74
	v_fma_f16 v75, v85, s28, v211
	v_add_f16_e32 v237, v244, v237
	v_mul_f16_e32 v244, 0xb836, v185
	v_add_f16_e32 v74, v75, v74
	v_fma_f16 v75, v86, s26, v212
	v_fma_f16 v245, v150, s22, v244
	v_add_f16_e32 v74, v75, v74
	v_fma_f16 v75, v87, s34, v213
	v_add_f16_e32 v161, v245, v237
	v_mul_f16_e32 v245, 0x39e9, v157
	v_add_f16_e32 v74, v75, v74
	v_fma_f16 v75, v88, s16, v214
	v_fma_f16 v246, v84, s25, v245
	v_mul_f16_e32 v247, 0x2de8, v158
	v_add_f16_e32 v74, v75, v74
	v_fma_f16 v75, v89, s24, v215
	v_add_f16_e32 v246, v134, v246
	v_fma_f16 v248, v85, s31, v247
	;; [unrolled: 2-line block ×3, first 2 shown]
	v_add_f16_e32 v246, v248, v246
	v_mul_f16_e32 v248, 0xb8d2, v160
	v_add_f16_e32 v74, v75, v74
	v_fma_f16 v75, v91, s25, v217
	v_fma_f16 v249, v86, s30, v248
	v_add_f16_e32 v74, v75, v74
	v_fma_f16 v75, v92, s13, -v218
	v_add_f16_e32 v246, v249, v246
	v_mul_f16_e32 v249, 0xbbdd, v162
	v_add_f16_e32 v68, v76, v68
	v_add_f16_e32 v75, v67, v75
	v_fma_f16 v76, v93, s27, -v220
	v_fma_f16 v250, v87, s33, v249
	v_add_f16_e32 v75, v76, v75
	v_fma_f16 v76, v95, s17, -v221
	v_add_f16_e32 v246, v250, v246
	v_mul_f16_e32 v250, 0xbacd, v164
	v_add_f16_e32 v75, v76, v75
	v_fma_f16 v76, v96, s2, -v222
	v_fma_f16 v251, v88, s24, v250
	v_add_f16_e32 v75, v76, v75
	v_fma_f16 v76, v97, s5, -v223
	v_add_f16_e32 v246, v251, v246
	v_mul_f16_e32 v251, 0xb461, v166
	;; [unrolled: 7-line block ×3, first 2 shown]
	v_add_f16_e32 v75, v76, v75
	v_fma_f16 v76, v150, s3, -v226
	v_fma_f16 v253, v90, s16, v252
	v_add_f16_e32 v75, v76, v75
	v_fma_f16 v76, v84, s16, v227
	v_add_f16_e32 v246, v253, v246
	v_mul_f16_e32 v253, 0x3b76, v170
	v_add_f16_e32 v68, v77, v68
	v_add_f16_e32 v76, v134, v76
	v_fma_f16 v77, v85, s23, v229
	v_fma_f16 v254, v91, s4, v253
	v_add_f16_e32 v76, v77, v76
	v_fma_f16 v77, v86, s33, v230
	v_add_f16_e32 v246, v254, v246
	v_mul_f16_e32 v254, 0xb964, v171
	v_add_f16_e32 v76, v77, v76
	v_fma_f16 v77, v87, s26, v231
	v_fma_f16 v255, v92, s3, v254
	v_mul_f16_e32 v122, 0xbbf7, v173
	v_add_f16_e32 v76, v77, v76
	v_fma_f16 v77, v88, s25, v232
	v_add_f16_e32 v255, v67, v255
	v_fma_f16 v123, v93, s13, v122
	v_add_f16_e32 v76, v77, v76
	v_fma_f16 v77, v89, s4, v233
	v_add_f16_e32 v123, v123, v255
	v_mul_f16_e32 v255, 0xba62, v175
	v_add_f16_e32 v76, v77, v76
	v_fma_f16 v77, v90, s18, v234
	v_fma_f16 v124, v95, s19, v255
	v_add_f16_e32 v76, v77, v76
	v_fma_f16 v77, v91, s24, v235
	v_add_f16_e32 v123, v124, v123
	v_mul_f16_e32 v124, 0xb1e1, v177
	v_add_f16_e32 v76, v77, v76
	v_fma_f16 v77, v92, s5, -v236
	v_fma_f16 v125, v96, s27, v124
	v_add_f16_e32 v68, v78, v68
	v_add_f16_e32 v77, v67, v77
	v_fma_f16 v78, v93, s19, -v238
	v_add_f16_e32 v123, v125, v123
	v_mul_f16_e32 v125, 0x3836, v179
	v_add_f16_e32 v77, v78, v77
	v_fma_f16 v78, v95, s27, -v239
	v_fma_f16 v126, v97, s22, v125
	v_add_f16_e32 v77, v78, v77
	v_fma_f16 v78, v96, s17, -v240
	v_add_f16_e32 v123, v126, v123
	v_mul_f16_e32 v126, 0x3bb2, v181
	v_add_f16_e32 v77, v78, v77
	v_fma_f16 v78, v97, s3, -v241
	v_fma_f16 v127, v98, s17, v126
	;; [unrolled: 7-line block ×3, first 2 shown]
	v_add_f16_e32 v77, v78, v77
	v_fma_f16 v78, v150, s22, -v244
	v_add_f16_e32 v123, v128, v123
	v_mul_f16_e32 v128, 0x35c8, v185
	v_add_f16_e32 v77, v78, v77
	v_fma_f16 v78, v84, s12, v245
	v_fma_f16 v129, v150, s2, v128
	v_add_f16_e32 v68, v79, v68
	v_add_f16_e32 v78, v134, v78
	v_fma_f16 v79, v85, s18, v247
	v_add_f16_e32 v123, v129, v123
	v_mul_f16_e32 v129, 0x3b76, v157
	v_add_f16_e32 v78, v79, v78
	v_fma_f16 v79, v86, s23, v248
	v_fma_f16 v157, v84, s34, v129
	v_mul_f16_e32 v158, 0x39e9, v158
	v_add_f16_e32 v78, v79, v78
	v_fma_f16 v79, v87, s28, v249
	v_add_f16_e32 v157, v134, v157
	v_fma_f16 v130, v85, s25, v158
	;; [unrolled: 2-line block ×3, first 2 shown]
	v_add_f16_e32 v130, v130, v157
	v_mul_f16_e32 v157, 0x3722, v160
	v_add_f16_e32 v78, v79, v78
	v_fma_f16 v79, v89, s26, v251
	v_fma_f16 v160, v86, s21, v157
	v_add_f16_e32 v78, v79, v78
	v_fma_f16 v79, v90, s21, v252
	v_add_f16_e32 v130, v160, v130
	v_mul_f16_e32 v160, 0x2de8, v162
	v_add_f16_e32 v78, v79, v78
	v_fma_f16 v79, v91, s34, v253
	v_fma_f16 v162, v87, s31, v160
	v_add_f16_e32 v78, v79, v78
	v_fma_f16 v79, v92, s3, -v254
	v_add_f16_e32 v130, v162, v130
	v_mul_f16_e32 v162, 0xb461, v164
	v_add_f16_e32 v68, v80, v68
	v_add_f16_e32 v79, v67, v79
	v_fma_f16 v80, v93, s13, -v122
	v_fma_f16 v164, v88, s26, v162
	v_add_f16_e32 v79, v80, v79
	v_fma_f16 v80, v95, s19, -v255
	v_add_f16_e32 v130, v164, v130
	v_mul_f16_e32 v164, 0xb8d2, v166
	v_add_f16_e32 v79, v80, v79
	v_fma_f16 v80, v96, s27, -v124
	v_fma_f16 v166, v89, s30, v164
	v_add_f16_e32 v79, v80, v79
	v_fma_f16 v80, v97, s22, -v125
	v_add_f16_e32 v130, v166, v130
	v_mul_f16_e32 v166, 0xbacd, v168
	;; [unrolled: 7-line block ×3, first 2 shown]
	v_add_f16_e32 v79, v80, v79
	v_fma_f16 v80, v150, s2, -v128
	v_fma_f16 v170, v91, s33, v168
	v_add_f16_e32 v79, v80, v79
	v_fma_f16 v80, v84, s4, v129
	v_add_f16_e32 v130, v170, v130
	v_mul_f16_e32 v170, 0xb5c8, v171
	v_add_f16_e32 v68, v81, v68
	v_add_f16_e32 v69, v135, v134
	;; [unrolled: 1-line block ×3, first 2 shown]
	v_fma_f16 v81, v85, s12, v158
	v_fma_f16 v171, v92, s2, v170
	v_mul_f16_e32 v173, 0xb964, v173
	v_add_f16_e32 v69, v136, v69
	v_add_f16_e32 v80, v81, v80
	v_fma_f16 v81, v86, s16, v157
	v_add_f16_e32 v171, v67, v171
	v_fma_f16 v131, v93, s3, v173
	v_add_f16_e32 v69, v137, v69
	v_add_f16_e32 v80, v81, v80
	v_fma_f16 v81, v87, s18, v160
	v_add_f16_e32 v131, v131, v171
	v_mul_f16_e32 v171, 0xbb29, v175
	v_add_f16_e32 v69, v138, v69
	v_add_f16_e32 v80, v81, v80
	v_fma_f16 v81, v88, s20, v162
	v_fma_f16 v175, v95, s5, v171
	v_add_f16_e32 v69, v139, v69
	v_add_f16_e32 v80, v81, v80
	v_fma_f16 v81, v89, s23, v164
	v_add_f16_e32 v131, v175, v131
	v_mul_f16_e32 v175, 0xbbf7, v177
	v_add_f16_e32 v69, v140, v69
	v_add_f16_e32 v80, v81, v80
	v_fma_f16 v81, v90, s24, v166
	v_fma_f16 v177, v96, s13, v175
	v_add_f16_e32 v69, v141, v69
	v_add_f16_e32 v80, v81, v80
	v_fma_f16 v81, v91, s28, v168
	v_add_f16_e32 v131, v177, v131
	v_mul_f16_e32 v177, 0xbbb2, v179
	v_add_f16_e32 v69, v142, v69
	v_add_f16_e32 v80, v81, v80
	v_fma_f16 v81, v92, s2, -v170
	v_fma_f16 v179, v97, s17, v177
	v_add_f16_e32 v69, v143, v69
	v_add_f16_e32 v67, v67, v81
	v_fma_f16 v81, v93, s3, -v173
	v_add_f16_e32 v131, v179, v131
	v_mul_f16_e32 v179, 0xba62, v181
	v_add_f16_e32 v69, v144, v69
	v_add_f16_e32 v67, v81, v67
	v_fma_f16 v81, v95, s5, -v171
	v_fma_f16 v181, v98, s19, v179
	v_add_f16_e32 v69, v145, v69
	v_add_f16_e32 v67, v81, v67
	v_fma_f16 v81, v96, s13, -v175
	;; [unrolled: 9-line block ×3, first 2 shown]
	v_add_f16_e32 v131, v183, v131
	v_mul_f16_e32 v183, 0xb1e1, v185
	v_add_f16_e32 v69, v148, v69
	v_add_f16_e32 v67, v81, v67
	v_fma_f16 v81, v119, s22, -v181
	v_fma_f16 v185, v150, s27, v183
	v_add_f16_e32 v68, v82, v68
	v_add_f16_e32 v69, v149, v69
	;; [unrolled: 1-line block ×3, first 2 shown]
	v_fma_f16 v81, v150, s27, -v183
	v_add_f16_e32 v131, v185, v131
	v_add_f16_e32 v68, v18, v68
	;; [unrolled: 1-line block ×4, first 2 shown]
	v_mul_u32_u24_e32 v81, 17, v118
	v_lshlrev_b32_e32 v81, 2, v81
	v_pack_b32_f16 v82, v131, v130
	v_pack_b32_f16 v68, v68, v69
	ds_write2_b32 v81, v68, v82 offset1:1
	v_pack_b32_f16 v68, v161, v180
	v_pack_b32_f16 v69, v123, v246
	ds_write2_b32 v81, v69, v68 offset0:2 offset1:3
	buffer_load_dword v18, off, s[44:47], 0 offset:44 ; 4-byte Folded Reload
	buffer_load_dword v68, off, s[44:47], 0 offset:48 ; 4-byte Folded Reload
	v_pack_b32_f16 v69, v201, v210
	v_mov_b32_e32 v209, v101
	v_mov_b32_e32 v101, v102
	;; [unrolled: 1-line block ×11, first 2 shown]
	buffer_load_dword v100, off, s[44:47], 0 ; 4-byte Folded Reload
	v_mov_b32_e32 v207, v154
	v_mov_b32_e32 v219, v156
	;; [unrolled: 1-line block ×10, first 2 shown]
	v_pack_b32_f16 v67, v67, v80
	s_waitcnt vmcnt(1)
	v_pack_b32_f16 v68, v68, v18
	ds_write2_b32 v81, v69, v68 offset0:4 offset1:5
	buffer_load_dword v18, off, s[44:47], 0 offset:28 ; 4-byte Folded Reload
	buffer_load_dword v68, off, s[44:47], 0 offset:32 ; 4-byte Folded Reload
	s_waitcnt vmcnt(0)
	v_pack_b32_f16 v68, v68, v18
	buffer_load_dword v18, off, s[44:47], 0 offset:36 ; 4-byte Folded Reload
	buffer_load_dword v69, off, s[44:47], 0 offset:40 ; 4-byte Folded Reload
	s_waitcnt vmcnt(0)
	v_pack_b32_f16 v69, v69, v18
	ds_write2_b32 v81, v69, v68 offset0:6 offset1:7
	buffer_load_dword v18, off, s[44:47], 0 offset:12 ; 4-byte Folded Reload
	buffer_load_dword v68, off, s[44:47], 0 offset:16 ; 4-byte Folded Reload
	s_waitcnt vmcnt(0)
	v_pack_b32_f16 v68, v68, v18
	buffer_load_dword v18, off, s[44:47], 0 offset:20 ; 4-byte Folded Reload
	buffer_load_dword v69, off, s[44:47], 0 offset:24 ; 4-byte Folded Reload
	s_waitcnt vmcnt(0)
	v_pack_b32_f16 v69, v69, v18
	ds_write2_b32 v81, v69, v68 offset0:8 offset1:9
	buffer_load_dword v18, off, s[44:47], 0 offset:4 ; 4-byte Folded Reload
	buffer_load_dword v69, off, s[44:47], 0 offset:8 ; 4-byte Folded Reload
	v_pack_b32_f16 v68, v71, v70
	ds_write_b32 v81, v67 offset:64
	s_waitcnt vmcnt(0)
	v_pack_b32_f16 v69, v69, v18
	ds_write2_b32 v81, v69, v68 offset0:10 offset1:11
	v_pack_b32_f16 v68, v75, v74
	v_pack_b32_f16 v69, v73, v72
	ds_write2_b32 v81, v69, v68 offset0:12 offset1:13
	v_pack_b32_f16 v68, v79, v78
	v_pack_b32_f16 v69, v77, v76
	ds_write2_b32 v81, v69, v68 offset0:14 offset1:15
.LBB0_13:
	s_or_b64 exec, exec, s[0:1]
	v_add_u32_e32 v71, 0x600, v99
	s_waitcnt lgkmcnt(0)
	; wave barrier
	s_waitcnt lgkmcnt(0)
	ds_read2_b32 v[77:78], v71 offset0:126 offset1:177
	v_add_u32_e32 v68, 0x1000, v99
	ds_read2_b32 v[79:80], v68 offset0:98 offset1:149
	v_add_u32_e32 v70, 0x800, v99
	ds_read2_b32 v[81:82], v70 offset0:100 offset1:151
	s_waitcnt lgkmcnt(2)
	v_lshrrev_b32_e32 v123, 16, v78
	v_mul_f16_sdwa v162, v19, v123 dst_sel:DWORD dst_unused:UNUSED_PAD src0_sel:WORD_1 src1_sel:DWORD
	s_waitcnt lgkmcnt(1)
	v_lshrrev_b32_e32 v124, 16, v79
	v_fma_f16 v162, v19, v78, v162
	v_mul_f16_sdwa v78, v19, v78 dst_sel:DWORD dst_unused:UNUSED_PAD src0_sel:WORD_1 src1_sel:DWORD
	v_fma_f16 v19, v19, v123, -v78
	v_mul_f16_sdwa v78, v20, v124 dst_sel:DWORD dst_unused:UNUSED_PAD src0_sel:WORD_1 src1_sel:DWORD
	s_waitcnt lgkmcnt(0)
	v_lshrrev_b32_e32 v126, 16, v81
	v_fma_f16 v78, v20, v79, v78
	v_mul_f16_sdwa v79, v20, v79 dst_sel:DWORD dst_unused:UNUSED_PAD src0_sel:WORD_1 src1_sel:DWORD
	ds_read2_b32 v[85:86], v68 offset0:200 offset1:251
	v_fma_f16 v20, v20, v124, -v79
	v_mul_f16_sdwa v79, v21, v126 dst_sel:DWORD dst_unused:UNUSED_PAD src0_sel:WORD_1 src1_sel:DWORD
	v_lshrrev_b32_e32 v127, 16, v80
	v_fma_f16 v79, v21, v81, v79
	v_mul_f16_sdwa v81, v21, v81 dst_sel:DWORD dst_unused:UNUSED_PAD src0_sel:WORD_1 src1_sel:DWORD
	ds_read2_b32 v[87:88], v70 offset0:202 offset1:253
	v_fma_f16 v21, v21, v126, -v81
	v_mul_f16_sdwa v81, v22, v127 dst_sel:DWORD dst_unused:UNUSED_PAD src0_sel:WORD_1 src1_sel:DWORD
	v_lshrrev_b32_e32 v129, 16, v82
	v_fma_f16 v81, v22, v80, v81
	v_mul_f16_sdwa v80, v22, v80 dst_sel:DWORD dst_unused:UNUSED_PAD src0_sel:WORD_1 src1_sel:DWORD
	v_fma_f16 v22, v22, v127, -v80
	v_mul_f16_sdwa v80, v23, v129 dst_sel:DWORD dst_unused:UNUSED_PAD src0_sel:WORD_1 src1_sel:DWORD
	s_waitcnt lgkmcnt(1)
	v_lshrrev_b32_e32 v130, 16, v85
	v_fma_f16 v80, v23, v82, v80
	v_mul_f16_sdwa v82, v23, v82 dst_sel:DWORD dst_unused:UNUSED_PAD src0_sel:WORD_1 src1_sel:DWORD
	v_fma_f16 v23, v23, v129, -v82
	v_mul_f16_sdwa v82, v24, v130 dst_sel:DWORD dst_unused:UNUSED_PAD src0_sel:WORD_1 src1_sel:DWORD
	s_waitcnt lgkmcnt(0)
	v_lshrrev_b32_e32 v138, 16, v87
	v_add_u32_e32 v72, 0x1400, v99
	v_fma_f16 v82, v24, v85, v82
	v_mul_f16_sdwa v85, v24, v85 dst_sel:DWORD dst_unused:UNUSED_PAD src0_sel:WORD_1 src1_sel:DWORD
	ds_read2_b32 v[91:92], v72 offset0:46 offset1:97
	v_fma_f16 v24, v24, v130, -v85
	v_mul_f16_sdwa v85, v25, v138 dst_sel:DWORD dst_unused:UNUSED_PAD src0_sel:WORD_1 src1_sel:DWORD
	v_lshrrev_b32_e32 v139, 16, v86
	v_add_u32_e32 v69, 0xc00, v99
	v_fma_f16 v85, v25, v87, v85
	v_mul_f16_sdwa v87, v25, v87 dst_sel:DWORD dst_unused:UNUSED_PAD src0_sel:WORD_1 src1_sel:DWORD
	ds_read2_b32 v[93:94], v69 offset0:48 offset1:99
	v_fma_f16 v25, v25, v138, -v87
	v_mul_f16_sdwa v87, v26, v139 dst_sel:DWORD dst_unused:UNUSED_PAD src0_sel:WORD_1 src1_sel:DWORD
	v_lshrrev_b32_e32 v141, 16, v88
	v_fma_f16 v87, v26, v86, v87
	v_mul_f16_sdwa v86, v26, v86 dst_sel:DWORD dst_unused:UNUSED_PAD src0_sel:WORD_1 src1_sel:DWORD
	v_fma_f16 v26, v26, v139, -v86
	v_mul_f16_sdwa v86, v27, v141 dst_sel:DWORD dst_unused:UNUSED_PAD src0_sel:WORD_1 src1_sel:DWORD
	s_waitcnt lgkmcnt(1)
	v_lshrrev_b32_e32 v142, 16, v91
	v_fma_f16 v86, v27, v88, v86
	v_mul_f16_sdwa v88, v27, v88 dst_sel:DWORD dst_unused:UNUSED_PAD src0_sel:WORD_1 src1_sel:DWORD
	v_fma_f16 v27, v27, v141, -v88
	v_mul_f16_sdwa v88, v28, v142 dst_sel:DWORD dst_unused:UNUSED_PAD src0_sel:WORD_1 src1_sel:DWORD
	s_waitcnt lgkmcnt(0)
	v_lshrrev_b32_e32 v144, 16, v93
	v_fma_f16 v88, v28, v91, v88
	v_mul_f16_sdwa v91, v28, v91 dst_sel:DWORD dst_unused:UNUSED_PAD src0_sel:WORD_1 src1_sel:DWORD
	ds_read2_b32 v[97:98], v72 offset0:148 offset1:199
	v_fma_f16 v28, v28, v142, -v91
	v_mul_f16_sdwa v91, v29, v144 dst_sel:DWORD dst_unused:UNUSED_PAD src0_sel:WORD_1 src1_sel:DWORD
	v_lshrrev_b32_e32 v145, 16, v92
	v_fma_f16 v91, v29, v93, v91
	v_mul_f16_sdwa v93, v29, v93 dst_sel:DWORD dst_unused:UNUSED_PAD src0_sel:WORD_1 src1_sel:DWORD
	ds_read2_b32 v[118:119], v69 offset0:150 offset1:201
	v_fma_f16 v29, v29, v144, -v93
	v_mul_f16_sdwa v93, v30, v145 dst_sel:DWORD dst_unused:UNUSED_PAD src0_sel:WORD_1 src1_sel:DWORD
	v_lshrrev_b32_e32 v147, 16, v94
	v_fma_f16 v93, v30, v92, v93
	v_mul_f16_sdwa v92, v30, v92 dst_sel:DWORD dst_unused:UNUSED_PAD src0_sel:WORD_1 src1_sel:DWORD
	v_fma_f16 v30, v30, v145, -v92
	v_mul_f16_sdwa v92, v31, v147 dst_sel:DWORD dst_unused:UNUSED_PAD src0_sel:WORD_1 src1_sel:DWORD
	s_waitcnt lgkmcnt(1)
	v_lshrrev_b32_e32 v148, 16, v97
	v_fma_f16 v92, v31, v94, v92
	v_mul_f16_sdwa v94, v31, v94 dst_sel:DWORD dst_unused:UNUSED_PAD src0_sel:WORD_1 src1_sel:DWORD
	v_fma_f16 v31, v31, v147, -v94
	v_mul_f16_sdwa v94, v32, v148 dst_sel:DWORD dst_unused:UNUSED_PAD src0_sel:WORD_1 src1_sel:DWORD
	s_waitcnt lgkmcnt(0)
	v_lshrrev_b32_e32 v150, 16, v118
	v_add_u32_e32 v67, 0x1600, v99
	v_fma_f16 v94, v32, v97, v94
	v_mul_f16_sdwa v97, v32, v97 dst_sel:DWORD dst_unused:UNUSED_PAD src0_sel:WORD_1 src1_sel:DWORD
	ds_read2_b32 v[134:135], v67 offset0:122 offset1:173
	v_add_u32_e32 v73, 0xe00, v99
	v_fma_f16 v32, v32, v148, -v97
	v_mul_f16_sdwa v97, v33, v150 dst_sel:DWORD dst_unused:UNUSED_PAD src0_sel:WORD_1 src1_sel:DWORD
	v_lshrrev_b32_e32 v151, 16, v98
	ds_read2_b32 v[136:137], v73 offset0:124 offset1:175
	v_fma_f16 v97, v33, v118, v97
	v_mul_f16_sdwa v118, v33, v118 dst_sel:DWORD dst_unused:UNUSED_PAD src0_sel:WORD_1 src1_sel:DWORD
	v_fma_f16 v33, v33, v150, -v118
	v_mul_f16_sdwa v118, v34, v151 dst_sel:DWORD dst_unused:UNUSED_PAD src0_sel:WORD_1 src1_sel:DWORD
	v_lshrrev_b32_e32 v153, 16, v119
	v_fma_f16 v118, v34, v98, v118
	v_mul_f16_sdwa v98, v34, v98 dst_sel:DWORD dst_unused:UNUSED_PAD src0_sel:WORD_1 src1_sel:DWORD
	ds_read_b32 v156, v99 offset:6528
	v_fma_f16 v34, v34, v151, -v98
	v_mul_f16_sdwa v98, v35, v153 dst_sel:DWORD dst_unused:UNUSED_PAD src0_sel:WORD_1 src1_sel:DWORD
	s_waitcnt lgkmcnt(2)
	v_lshrrev_b32_e32 v154, 16, v134
	v_fma_f16 v98, v35, v119, v98
	v_mul_f16_sdwa v119, v35, v119 dst_sel:DWORD dst_unused:UNUSED_PAD src0_sel:WORD_1 src1_sel:DWORD
	ds_read2_b32 v[75:76], v99 offset1:51
	s_waitcnt lgkmcnt(2)
	v_lshrrev_b32_e32 v157, 16, v136
	v_fma_f16 v35, v35, v153, -v119
	v_mul_f16_sdwa v119, v36, v154 dst_sel:DWORD dst_unused:UNUSED_PAD src0_sel:WORD_1 src1_sel:DWORD
	v_mul_f16_sdwa v123, v36, v134 dst_sel:DWORD dst_unused:UNUSED_PAD src0_sel:WORD_1 src1_sel:DWORD
	v_lshrrev_b32_e32 v158, 16, v135
	v_fma_f16 v119, v36, v134, v119
	v_fma_f16 v36, v36, v154, -v123
	v_mul_f16_sdwa v123, v37, v157 dst_sel:DWORD dst_unused:UNUSED_PAD src0_sel:WORD_1 src1_sel:DWORD
	v_mul_f16_sdwa v124, v37, v136 dst_sel:DWORD dst_unused:UNUSED_PAD src0_sel:WORD_1 src1_sel:DWORD
	v_lshrrev_b32_e32 v160, 16, v137
	v_fma_f16 v123, v37, v136, v123
	v_fma_f16 v37, v37, v157, -v124
	v_mul_f16_sdwa v124, v38, v158 dst_sel:DWORD dst_unused:UNUSED_PAD src0_sel:WORD_1 src1_sel:DWORD
	v_mul_f16_sdwa v126, v38, v135 dst_sel:DWORD dst_unused:UNUSED_PAD src0_sel:WORD_1 src1_sel:DWORD
	s_waitcnt lgkmcnt(1)
	v_lshrrev_b32_e32 v161, 16, v156
	v_fma_f16 v124, v38, v135, v124
	v_fma_f16 v38, v38, v158, -v126
	v_mul_f16_sdwa v126, v39, v160 dst_sel:DWORD dst_unused:UNUSED_PAD src0_sel:WORD_1 src1_sel:DWORD
	v_mul_f16_sdwa v127, v39, v137 dst_sel:DWORD dst_unused:UNUSED_PAD src0_sel:WORD_1 src1_sel:DWORD
	v_fma_f16 v126, v39, v137, v126
	v_fma_f16 v39, v39, v160, -v127
	v_mul_f16_sdwa v127, v40, v161 dst_sel:DWORD dst_unused:UNUSED_PAD src0_sel:WORD_1 src1_sel:DWORD
	v_mul_f16_sdwa v129, v40, v156 dst_sel:DWORD dst_unused:UNUSED_PAD src0_sel:WORD_1 src1_sel:DWORD
	v_add_f16_e32 v130, v162, v78
	s_waitcnt lgkmcnt(0)
	v_lshrrev_b32_e32 v122, 16, v75
	v_fma_f16 v127, v40, v156, v127
	v_fma_f16 v40, v40, v161, -v129
	v_add_f16_e32 v129, v75, v162
	v_fma_f16 v75, v130, -0.5, v75
	v_sub_f16_e32 v130, v19, v20
	s_mov_b32 s0, 0xbaee
	s_movk_i32 s1, 0x3aee
	ds_read2_b32 v[83:84], v99 offset0:102 offset1:153
	v_fma_f16 v134, v130, s0, v75
	v_fma_f16 v75, v130, s1, v75
	v_add_f16_e32 v130, v122, v19
	v_add_f16_e32 v19, v19, v20
	;; [unrolled: 1-line block ×3, first 2 shown]
	v_fma_f16 v19, v19, -0.5, v122
	v_sub_f16_e32 v20, v162, v78
	v_add_f16_e32 v122, v79, v81
	v_lshrrev_b32_e32 v125, 16, v76
	v_add_f16_e32 v129, v129, v78
	v_fma_f16 v78, v20, s1, v19
	v_fma_f16 v19, v20, s0, v19
	v_add_f16_e32 v20, v76, v79
	v_fma_f16 v76, v122, -0.5, v76
	v_sub_f16_e32 v122, v21, v22
	v_fma_f16 v135, v122, s0, v76
	v_fma_f16 v76, v122, s1, v76
	v_add_f16_e32 v122, v125, v21
	v_add_f16_e32 v21, v21, v22
	;; [unrolled: 1-line block ×4, first 2 shown]
	v_fma_f16 v21, v21, -0.5, v125
	v_sub_f16_e32 v22, v79, v81
	v_add_f16_e32 v81, v80, v82
	s_waitcnt lgkmcnt(0)
	v_lshrrev_b32_e32 v128, 16, v83
	v_fma_f16 v79, v22, s1, v21
	v_fma_f16 v21, v22, s0, v21
	v_add_f16_e32 v22, v83, v80
	v_fma_f16 v81, v81, -0.5, v83
	v_sub_f16_e32 v83, v23, v24
	ds_read2_b32 v[89:90], v99 offset0:204 offset1:255
	v_fma_f16 v125, v83, s0, v81
	v_fma_f16 v81, v83, s1, v81
	v_add_f16_e32 v83, v128, v23
	v_add_f16_e32 v23, v23, v24
	;; [unrolled: 1-line block ×4, first 2 shown]
	v_fma_f16 v23, v23, -0.5, v128
	v_sub_f16_e32 v24, v80, v82
	v_add_f16_e32 v82, v85, v87
	v_lshrrev_b32_e32 v131, 16, v84
	v_fma_f16 v80, v24, s1, v23
	v_fma_f16 v23, v24, s0, v23
	v_add_f16_e32 v24, v84, v85
	v_fma_f16 v82, v82, -0.5, v84
	v_sub_f16_e32 v84, v25, v26
	v_fma_f16 v128, v84, s0, v82
	v_fma_f16 v82, v84, s1, v82
	v_add_f16_e32 v84, v131, v25
	v_add_f16_e32 v25, v25, v26
	;; [unrolled: 1-line block ×4, first 2 shown]
	v_fma_f16 v25, v25, -0.5, v131
	v_sub_f16_e32 v26, v85, v87
	v_add_f16_e32 v87, v86, v88
	s_waitcnt lgkmcnt(0)
	v_lshrrev_b32_e32 v140, 16, v89
	v_add_u32_e32 v74, 0x400, v99
	v_fma_f16 v85, v26, s1, v25
	v_fma_f16 v25, v26, s0, v25
	v_add_f16_e32 v26, v89, v86
	v_fma_f16 v87, v87, -0.5, v89
	v_sub_f16_e32 v89, v27, v28
	ds_read2_b32 v[95:96], v74 offset0:50 offset1:101
	v_fma_f16 v131, v89, s0, v87
	v_fma_f16 v87, v89, s1, v87
	v_add_f16_e32 v89, v140, v27
	v_add_f16_e32 v27, v27, v28
	;; [unrolled: 1-line block ×4, first 2 shown]
	v_fma_f16 v27, v27, -0.5, v140
	v_sub_f16_e32 v28, v86, v88
	v_add_f16_e32 v88, v91, v93
	v_lshrrev_b32_e32 v143, 16, v90
	v_fma_f16 v86, v28, s1, v27
	v_fma_f16 v27, v28, s0, v27
	v_add_f16_e32 v28, v90, v91
	v_fma_f16 v88, v88, -0.5, v90
	v_sub_f16_e32 v90, v29, v30
	v_fma_f16 v136, v90, s0, v88
	v_fma_f16 v88, v90, s1, v88
	v_add_f16_e32 v90, v143, v29
	v_add_f16_e32 v29, v29, v30
	;; [unrolled: 1-line block ×4, first 2 shown]
	v_fma_f16 v29, v29, -0.5, v143
	v_sub_f16_e32 v30, v91, v93
	v_add_f16_e32 v93, v92, v94
	s_waitcnt lgkmcnt(0)
	v_lshrrev_b32_e32 v146, 16, v95
	v_fma_f16 v91, v30, s1, v29
	v_fma_f16 v29, v30, s0, v29
	v_add_f16_e32 v30, v95, v92
	v_fma_f16 v93, v93, -0.5, v95
	v_sub_f16_e32 v95, v31, v32
	ds_read2_b32 v[120:121], v74 offset0:152 offset1:203
	v_fma_f16 v137, v95, s0, v93
	v_fma_f16 v93, v95, s1, v93
	v_add_f16_e32 v95, v146, v31
	v_add_f16_e32 v31, v31, v32
	;; [unrolled: 1-line block ×4, first 2 shown]
	v_fma_f16 v31, v31, -0.5, v146
	v_sub_f16_e32 v32, v92, v94
	v_add_f16_e32 v94, v97, v118
	v_lshrrev_b32_e32 v149, 16, v96
	v_fma_f16 v92, v32, s1, v31
	v_fma_f16 v31, v32, s0, v31
	v_add_f16_e32 v32, v96, v97
	v_fma_f16 v94, v94, -0.5, v96
	v_sub_f16_e32 v96, v33, v34
	v_fma_f16 v138, v96, s0, v94
	v_fma_f16 v94, v96, s1, v94
	v_add_f16_e32 v96, v149, v33
	v_add_f16_e32 v33, v33, v34
	;; [unrolled: 1-line block ×4, first 2 shown]
	v_fma_f16 v33, v33, -0.5, v149
	v_sub_f16_e32 v34, v97, v118
	v_add_f16_e32 v118, v98, v119
	s_waitcnt lgkmcnt(0)
	v_lshrrev_b32_e32 v152, 16, v120
	v_fma_f16 v97, v34, s1, v33
	v_fma_f16 v33, v34, s0, v33
	v_add_f16_e32 v34, v120, v98
	v_fma_f16 v118, v118, -0.5, v120
	v_sub_f16_e32 v120, v35, v36
	v_fma_f16 v139, v120, s0, v118
	v_fma_f16 v118, v120, s1, v118
	v_add_f16_e32 v120, v152, v35
	v_add_f16_e32 v35, v35, v36
	v_add_f16_e32 v34, v34, v119
	v_add_f16_e32 v120, v120, v36
	v_fma_f16 v35, v35, -0.5, v152
	v_sub_f16_e32 v36, v98, v119
	v_add_f16_e32 v119, v123, v124
	v_lshrrev_b32_e32 v155, 16, v121
	v_fma_f16 v98, v36, s1, v35
	v_fma_f16 v35, v36, s0, v35
	v_add_f16_e32 v36, v121, v123
	v_fma_f16 v119, v119, -0.5, v121
	v_sub_f16_e32 v121, v37, v38
	v_fma_f16 v140, v121, s0, v119
	v_fma_f16 v119, v121, s1, v119
	v_add_f16_e32 v121, v155, v37
	v_add_f16_e32 v37, v37, v38
	;; [unrolled: 1-line block ×4, first 2 shown]
	v_fma_f16 v37, v37, -0.5, v155
	v_sub_f16_e32 v38, v123, v124
	v_add_f16_e32 v124, v126, v127
	v_lshrrev_b32_e32 v159, 16, v77
	v_fma_f16 v123, v38, s1, v37
	v_fma_f16 v37, v38, s0, v37
	v_add_f16_e32 v38, v77, v126
	v_fma_f16 v77, v124, -0.5, v77
	v_sub_f16_e32 v124, v39, v40
	v_fma_f16 v141, v124, s0, v77
	v_fma_f16 v77, v124, s1, v77
	v_add_f16_e32 v124, v159, v39
	v_add_f16_e32 v39, v39, v40
	;; [unrolled: 1-line block ×3, first 2 shown]
	v_fma_f16 v39, v39, -0.5, v159
	v_sub_f16_e32 v40, v126, v127
	v_pack_b32_f16 v19, v75, v19
	v_fma_f16 v126, v40, s1, v39
	v_fma_f16 v39, v40, s0, v39
	s_waitcnt lgkmcnt(0)
	; wave barrier
	v_pack_b32_f16 v40, v129, v130
	v_pack_b32_f16 v78, v134, v78
	ds_write_b32 v207, v19 offset:136
	v_pack_b32_f16 v19, v20, v122
	v_pack_b32_f16 v20, v135, v79
	ds_write2_b32 v207, v40, v78 offset1:17
	ds_write2_b32 v208, v19, v20 offset1:17
	v_pack_b32_f16 v19, v76, v21
	ds_write_b32 v208, v19 offset:136
	v_pack_b32_f16 v19, v22, v83
	v_pack_b32_f16 v20, v125, v80
	ds_write2_b32 v219, v19, v20 offset1:17
	v_pack_b32_f16 v19, v81, v23
	ds_write_b32 v219, v19 offset:136
	v_pack_b32_f16 v19, v24, v84
	v_pack_b32_f16 v20, v128, v85
	ds_write2_b32 v210, v19, v20 offset1:17
	v_pack_b32_f16 v19, v82, v25
	ds_write_b32 v210, v19 offset:136
	v_pack_b32_f16 v19, v26, v89
	v_pack_b32_f16 v20, v131, v86
	ds_write2_b32 v132, v19, v20 offset1:17
	v_pack_b32_f16 v19, v87, v27
	ds_write_b32 v132, v19 offset:136
	v_pack_b32_f16 v19, v28, v90
	v_pack_b32_f16 v20, v136, v91
	ds_write2_b32 v212, v19, v20 offset1:17
	v_pack_b32_f16 v19, v88, v29
	ds_write_b32 v212, v19 offset:136
	v_pack_b32_f16 v19, v30, v95
	v_pack_b32_f16 v20, v137, v92
	ds_write2_b32 v213, v19, v20 offset1:17
	v_pack_b32_f16 v19, v93, v31
	ds_write_b32 v213, v19 offset:136
	v_pack_b32_f16 v19, v32, v96
	v_pack_b32_f16 v20, v138, v97
	ds_write2_b32 v228, v19, v20 offset1:17
	v_pack_b32_f16 v19, v94, v33
	ds_write_b32 v228, v19 offset:136
	v_pack_b32_f16 v19, v34, v120
	v_pack_b32_f16 v20, v139, v98
	ds_write2_b32 v214, v19, v20 offset1:17
	v_pack_b32_f16 v19, v118, v35
	ds_write_b32 v214, v19 offset:136
	v_pack_b32_f16 v19, v36, v121
	v_pack_b32_f16 v20, v140, v123
	v_add_f16_e32 v38, v38, v127
	ds_write2_b32 v237, v19, v20 offset1:17
	v_pack_b32_f16 v19, v119, v37
	ds_write_b32 v237, v19 offset:136
	v_pack_b32_f16 v19, v38, v124
	v_pack_b32_f16 v20, v141, v126
	ds_write2_b32 v215, v19, v20 offset1:17
	v_pack_b32_f16 v19, v77, v39
	ds_write_b32 v215, v19 offset:136
	s_waitcnt lgkmcnt(0)
	; wave barrier
	s_waitcnt lgkmcnt(0)
	ds_read2_b32 v[19:20], v99 offset0:102 offset1:153
	ds_read2_b32 v[23:24], v74 offset0:50 offset1:101
	ds_read2_b32 v[21:22], v99 offset1:51
	ds_read2_b32 v[27:28], v74 offset0:152 offset1:203
	ds_read2_b32 v[25:26], v70 offset0:100 offset1:151
	ds_read2_b32 v[29:30], v70 offset0:202 offset1:253
	ds_read2_b32 v[31:32], v69 offset0:150 offset1:201
	s_waitcnt lgkmcnt(6)
	v_lshrrev_b32_e32 v39, 16, v20
	v_mul_f16_sdwa v136, v0, v39 dst_sel:DWORD dst_unused:UNUSED_PAD src0_sel:WORD_1 src1_sel:DWORD
	s_waitcnt lgkmcnt(5)
	v_lshrrev_b32_e32 v40, 16, v23
	v_fma_f16 v136, v0, v20, v136
	v_mul_f16_sdwa v20, v0, v20 dst_sel:DWORD dst_unused:UNUSED_PAD src0_sel:WORD_1 src1_sel:DWORD
	v_fma_f16 v39, v0, v39, -v20
	v_mul_f16_sdwa v20, v1, v40 dst_sel:DWORD dst_unused:UNUSED_PAD src0_sel:WORD_1 src1_sel:DWORD
	s_waitcnt lgkmcnt(3)
	v_lshrrev_b32_e32 v75, 16, v28
	v_fma_f16 v137, v1, v23, v20
	v_mul_f16_sdwa v20, v1, v23 dst_sel:DWORD dst_unused:UNUSED_PAD src0_sel:WORD_1 src1_sel:DWORD
	v_fma_f16 v138, v1, v40, -v20
	v_mul_f16_sdwa v20, v2, v75 dst_sel:DWORD dst_unused:UNUSED_PAD src0_sel:WORD_1 src1_sel:DWORD
	s_waitcnt lgkmcnt(2)
	v_lshrrev_b32_e32 v76, 16, v25
	v_fma_f16 v139, v2, v28, v20
	v_mul_f16_sdwa v20, v2, v28 dst_sel:DWORD dst_unused:UNUSED_PAD src0_sel:WORD_1 src1_sel:DWORD
	ds_read2_b32 v[33:34], v73 offset0:124 offset1:175
	v_fma_f16 v28, v2, v75, -v20
	v_mul_f16_sdwa v20, v3, v76 dst_sel:DWORD dst_unused:UNUSED_PAD src0_sel:WORD_1 src1_sel:DWORD
	s_waitcnt lgkmcnt(2)
	v_lshrrev_b32_e32 v83, 16, v30
	v_fma_f16 v140, v3, v25, v20
	v_mul_f16_sdwa v20, v3, v25 dst_sel:DWORD dst_unused:UNUSED_PAD src0_sel:WORD_1 src1_sel:DWORD
	v_fma_f16 v141, v3, v76, -v20
	v_mul_f16_sdwa v20, v4, v83 dst_sel:DWORD dst_unused:UNUSED_PAD src0_sel:WORD_1 src1_sel:DWORD
	s_waitcnt lgkmcnt(1)
	v_lshrrev_b32_e32 v84, 16, v31
	ds_read2_b32 v[35:36], v68 offset0:200 offset1:251
	ds_read2_b32 v[37:38], v72 offset0:46 offset1:97
	v_fma_f16 v142, v4, v30, v20
	v_mul_f16_sdwa v20, v4, v30 dst_sel:DWORD dst_unused:UNUSED_PAD src0_sel:WORD_1 src1_sel:DWORD
	v_fma_f16 v30, v4, v83, -v20
	v_mul_f16_sdwa v20, v5, v84 dst_sel:DWORD dst_unused:UNUSED_PAD src0_sel:WORD_1 src1_sel:DWORD
	s_waitcnt lgkmcnt(2)
	v_lshrrev_b32_e32 v85, 16, v34
	v_fma_f16 v143, v5, v31, v20
	v_mul_f16_sdwa v20, v5, v31 dst_sel:DWORD dst_unused:UNUSED_PAD src0_sel:WORD_1 src1_sel:DWORD
	v_fma_f16 v31, v5, v84, -v20
	v_mul_f16_sdwa v20, v6, v85 dst_sel:DWORD dst_unused:UNUSED_PAD src0_sel:WORD_1 src1_sel:DWORD
	ds_read2_b32 v[77:78], v67 offset0:122 offset1:173
	ds_read2_b32 v[79:80], v99 offset0:204 offset1:255
	s_waitcnt lgkmcnt(3)
	v_lshrrev_b32_e32 v92, 16, v35
	v_fma_f16 v144, v6, v34, v20
	v_mul_f16_sdwa v20, v6, v34 dst_sel:DWORD dst_unused:UNUSED_PAD src0_sel:WORD_1 src1_sel:DWORD
	v_fma_f16 v145, v6, v85, -v20
	v_mul_f16_sdwa v20, v7, v92 dst_sel:DWORD dst_unused:UNUSED_PAD src0_sel:WORD_1 src1_sel:DWORD
	s_waitcnt lgkmcnt(2)
	v_lshrrev_b32_e32 v93, 16, v38
	v_fma_f16 v146, v7, v35, v20
	v_mul_f16_sdwa v20, v7, v35 dst_sel:DWORD dst_unused:UNUSED_PAD src0_sel:WORD_1 src1_sel:DWORD
	v_fma_f16 v35, v7, v92, -v20
	v_mul_f16_sdwa v20, v41, v93 dst_sel:DWORD dst_unused:UNUSED_PAD src0_sel:WORD_1 src1_sel:DWORD
	s_waitcnt lgkmcnt(1)
	v_lshrrev_b32_e32 v94, 16, v77
	v_fma_f16 v92, v41, v38, v20
	v_mul_f16_sdwa v20, v41, v38 dst_sel:DWORD dst_unused:UNUSED_PAD src0_sel:WORD_1 src1_sel:DWORD
	ds_read2_b32 v[81:82], v71 offset0:126 offset1:177
	v_fma_f16 v38, v41, v93, -v20
	v_mul_f16_sdwa v20, v42, v94 dst_sel:DWORD dst_unused:UNUSED_PAD src0_sel:WORD_1 src1_sel:DWORD
	s_waitcnt lgkmcnt(1)
	v_lshrrev_b32_e32 v95, 16, v79
	v_fma_f16 v93, v42, v77, v20
	v_mul_f16_sdwa v20, v42, v77 dst_sel:DWORD dst_unused:UNUSED_PAD src0_sel:WORD_1 src1_sel:DWORD
	v_fma_f16 v94, v42, v94, -v20
	v_mul_f16_sdwa v20, v0, v95 dst_sel:DWORD dst_unused:UNUSED_PAD src0_sel:WORD_1 src1_sel:DWORD
	v_lshrrev_b32_e32 v96, 16, v24
	v_fma_f16 v147, v0, v79, v20
	v_mul_f16_sdwa v20, v0, v79 dst_sel:DWORD dst_unused:UNUSED_PAD src0_sel:WORD_1 src1_sel:DWORD
	ds_read2_b32 v[86:87], v69 offset0:48 offset1:99
	v_fma_f16 v95, v0, v95, -v20
	v_mul_f16_sdwa v0, v1, v96 dst_sel:DWORD dst_unused:UNUSED_PAD src0_sel:WORD_1 src1_sel:DWORD
	s_waitcnt lgkmcnt(1)
	v_lshrrev_b32_e32 v97, 16, v81
	v_fma_f16 v148, v1, v24, v0
	v_mul_f16_sdwa v0, v1, v24 dst_sel:DWORD dst_unused:UNUSED_PAD src0_sel:WORD_1 src1_sel:DWORD
	v_fma_f16 v96, v1, v96, -v0
	v_mul_f16_sdwa v0, v2, v97 dst_sel:DWORD dst_unused:UNUSED_PAD src0_sel:WORD_1 src1_sel:DWORD
	;; [unrolled: 12-line block ×4, first 2 shown]
	v_lshrrev_b32_e32 v121, 16, v36
	v_fma_f16 v85, v6, v88, v0
	v_mul_f16_sdwa v0, v6, v88 dst_sel:DWORD dst_unused:UNUSED_PAD src0_sel:WORD_1 src1_sel:DWORD
	v_fma_f16 v86, v6, v120, -v0
	v_mul_f16_sdwa v0, v7, v121 dst_sel:DWORD dst_unused:UNUSED_PAD src0_sel:WORD_1 src1_sel:DWORD
	s_waitcnt lgkmcnt(0)
	v_lshrrev_b32_e32 v122, 16, v90
	v_fma_f16 v88, v7, v36, v0
	v_mul_f16_sdwa v0, v7, v36 dst_sel:DWORD dst_unused:UNUSED_PAD src0_sel:WORD_1 src1_sel:DWORD
	v_fma_f16 v98, v7, v121, -v0
	v_mul_f16_sdwa v0, v41, v122 dst_sel:DWORD dst_unused:UNUSED_PAD src0_sel:WORD_1 src1_sel:DWORD
	v_lshrrev_b32_e32 v123, 16, v78
	v_fma_f16 v118, v41, v90, v0
	v_mul_f16_sdwa v0, v41, v90 dst_sel:DWORD dst_unused:UNUSED_PAD src0_sel:WORD_1 src1_sel:DWORD
	v_fma_f16 v90, v41, v122, -v0
	v_mul_f16_sdwa v0, v42, v123 dst_sel:DWORD dst_unused:UNUSED_PAD src0_sel:WORD_1 src1_sel:DWORD
	;; [unrolled: 5-line block ×8, first 2 shown]
	v_lshrrev_b32_e32 v131, 16, v89
	v_fma_f16 v4, v13, v33, v0
	v_mul_f16_sdwa v0, v13, v33 dst_sel:DWORD dst_unused:UNUSED_PAD src0_sel:WORD_1 src1_sel:DWORD
	ds_read_b32 v129, v99 offset:6528
	v_fma_f16 v5, v13, v130, -v0
	v_mul_f16_sdwa v0, v14, v131 dst_sel:DWORD dst_unused:UNUSED_PAD src0_sel:WORD_1 src1_sel:DWORD
	v_lshrrev_b32_e32 v132, 16, v37
	v_fma_f16 v8, v14, v89, v0
	v_mul_f16_sdwa v0, v14, v89 dst_sel:DWORD dst_unused:UNUSED_PAD src0_sel:WORD_1 src1_sel:DWORD
	v_fma_f16 v9, v14, v131, -v0
	v_mul_f16_sdwa v0, v15, v132 dst_sel:DWORD dst_unused:UNUSED_PAD src0_sel:WORD_1 src1_sel:DWORD
	v_lshrrev_b32_e32 v134, 16, v91
	v_fma_f16 v11, v15, v37, v0
	v_mul_f16_sdwa v0, v15, v37 dst_sel:DWORD dst_unused:UNUSED_PAD src0_sel:WORD_1 src1_sel:DWORD
	v_fma_f16 v12, v15, v132, -v0
	v_mul_f16_sdwa v0, v43, v134 dst_sel:DWORD dst_unused:UNUSED_PAD src0_sel:WORD_1 src1_sel:DWORD
	s_waitcnt lgkmcnt(0)
	v_lshrrev_b32_e32 v135, 16, v129
	v_fma_f16 v13, v43, v91, v0
	v_mul_f16_sdwa v0, v43, v91 dst_sel:DWORD dst_unused:UNUSED_PAD src0_sel:WORD_1 src1_sel:DWORD
	v_fma_f16 v14, v43, v134, -v0
	v_mul_f16_sdwa v0, v44, v135 dst_sel:DWORD dst_unused:UNUSED_PAD src0_sel:WORD_1 src1_sel:DWORD
	v_fma_f16 v33, v44, v129, v0
	v_mul_f16_sdwa v0, v44, v129 dst_sel:DWORD dst_unused:UNUSED_PAD src0_sel:WORD_1 src1_sel:DWORD
	v_fma_f16 v34, v44, v135, -v0
	v_add_f16_e32 v0, v21, v136
	v_add_f16_sdwa v1, v21, v39 dst_sel:DWORD dst_unused:UNUSED_PAD src0_sel:WORD_1 src1_sel:DWORD
	v_add_f16_e32 v0, v0, v137
	v_add_f16_e32 v1, v1, v138
	;; [unrolled: 1-line block ×15, first 2 shown]
	v_sub_f16_e32 v32, v39, v94
	v_add_f16_e32 v0, v0, v92
	v_add_f16_e32 v1, v1, v38
	;; [unrolled: 1-line block ×3, first 2 shown]
	v_sub_f16_e32 v29, v136, v93
	s_mov_b32 s13, 0xb853
	v_mul_f16_e32 v36, 0xb853, v32
	s_movk_i32 s16, 0x3abb
	v_mul_f16_e32 v39, 0x3abb, v27
	s_movk_i32 s17, 0x3853
	s_mov_b32 s3, 0xbb47
	v_mul_f16_e32 v42, 0xbb47, v32
	s_movk_i32 s4, 0x36a6
	v_mul_f16_e32 v44, 0x36a6, v27
	s_movk_i32 s5, 0x3b47
	s_mov_b32 s2, 0xbbeb
	v_mul_f16_e32 v79, 0xbbeb, v32
	s_mov_b32 s12, 0xb08e
	v_mul_f16_e32 v81, 0xb08e, v27
	s_movk_i32 s18, 0x3beb
	s_mov_b32 s19, 0xba0c
	v_mul_f16_e32 v87, 0xba0c, v32
	s_mov_b32 s20, 0xb93d
	v_mul_f16_e32 v91, 0xb93d, v27
	s_movk_i32 s21, 0x3a0c
	s_mov_b32 s22, 0xb482
	v_mul_f16_e32 v32, 0xb482, v32
	s_mov_b32 s23, 0xbbad
	v_mul_f16_e32 v27, 0xbbad, v27
	s_movk_i32 s24, 0x3482
	v_add_f16_e32 v0, v0, v93
	v_add_f16_e32 v1, v1, v94
	v_fma_f16 v37, v15, s16, v36
	v_fma_f16 v41, v29, s17, v39
	v_fma_f16 v36, v15, s16, -v36
	v_fma_f16 v39, v29, s13, v39
	v_fma_f16 v43, v15, s4, v42
	v_fma_f16 v78, v29, s5, v44
	v_fma_f16 v42, v15, s4, -v42
	v_fma_f16 v44, v29, s3, v44
	;; [unrolled: 4-line block ×5, first 2 shown]
	v_add_f16_e32 v29, v138, v38
	v_sub_f16_e32 v38, v138, v38
	v_add_f16_e32 v37, v21, v37
	v_add_f16_sdwa v41, v21, v41 dst_sel:DWORD dst_unused:UNUSED_PAD src0_sel:WORD_1 src1_sel:DWORD
	v_add_f16_e32 v36, v21, v36
	v_add_f16_sdwa v39, v21, v39 dst_sel:DWORD dst_unused:UNUSED_PAD src0_sel:WORD_1 src1_sel:DWORD
	;; [unrolled: 2-line block ×10, first 2 shown]
	v_add_f16_e32 v27, v137, v92
	v_sub_f16_e32 v32, v137, v92
	v_mul_f16_e32 v92, 0xbb47, v38
	v_fma_f16 v122, v27, s4, v92
	v_add_f16_e32 v37, v122, v37
	v_mul_f16_e32 v122, 0x36a6, v29
	v_fma_f16 v92, v27, s4, -v92
	v_add_f16_e32 v36, v92, v36
	v_fma_f16 v92, v32, s3, v122
	v_add_f16_e32 v39, v92, v39
	v_mul_f16_e32 v92, 0xba0c, v38
	v_fma_f16 v123, v32, s5, v122
	v_fma_f16 v122, v27, s20, v92
	v_add_f16_e32 v43, v122, v43
	v_mul_f16_e32 v122, 0xb93d, v29
	v_fma_f16 v92, v27, s20, -v92
	v_add_f16_e32 v42, v92, v42
	v_fma_f16 v92, v32, s19, v122
	v_add_f16_e32 v44, v92, v44
	v_mul_f16_e32 v92, 0x3482, v38
	v_add_f16_e32 v41, v123, v41
	v_fma_f16 v123, v32, s21, v122
	v_fma_f16 v122, v27, s23, v92
	v_add_f16_e32 v80, v122, v80
	v_mul_f16_e32 v122, 0xbbad, v29
	v_fma_f16 v92, v27, s23, -v92
	v_add_f16_e32 v79, v92, v79
	v_fma_f16 v92, v32, s24, v122
	v_add_f16_e32 v81, v92, v81
	v_mul_f16_e32 v92, 0x3beb, v38
	v_add_f16_e32 v78, v123, v78
	v_fma_f16 v123, v32, s22, v122
	v_fma_f16 v122, v27, s12, v92
	v_add_f16_e32 v89, v122, v89
	v_mul_f16_e32 v122, 0xb08e, v29
	v_fma_f16 v92, v27, s12, -v92
	v_add_f16_e32 v87, v92, v87
	v_fma_f16 v92, v32, s18, v122
	v_mul_f16_e32 v38, 0x3853, v38
	v_add_f16_e32 v91, v92, v91
	v_fma_f16 v92, v27, s16, v38
	v_mul_f16_e32 v29, 0x3abb, v29
	v_fma_f16 v27, v27, s16, -v38
	v_add_f16_e32 v92, v92, v94
	v_fma_f16 v94, v32, s13, v29
	v_add_f16_e32 v15, v27, v15
	v_fma_f16 v27, v32, s17, v29
	v_add_f16_e32 v29, v28, v35
	v_sub_f16_e32 v28, v28, v35
	v_add_f16_e32 v21, v27, v21
	v_add_f16_e32 v27, v139, v146
	v_mul_f16_e32 v35, 0xbbeb, v28
	v_fma_f16 v38, v27, s12, v35
	v_add_f16_e32 v82, v123, v82
	v_fma_f16 v123, v32, s2, v122
	v_sub_f16_e32 v32, v139, v146
	v_add_f16_e32 v37, v38, v37
	v_mul_f16_e32 v38, 0xb08e, v29
	v_fma_f16 v35, v27, s12, -v35
	v_add_f16_e32 v94, v94, v121
	v_fma_f16 v121, v32, s18, v38
	v_add_f16_e32 v35, v35, v36
	v_fma_f16 v36, v32, s2, v38
	v_mul_f16_e32 v38, 0x3482, v28
	v_add_f16_e32 v36, v36, v39
	v_fma_f16 v39, v27, s23, v38
	v_add_f16_e32 v39, v39, v43
	v_mul_f16_e32 v43, 0xbbad, v29
	v_fma_f16 v38, v27, s23, -v38
	v_add_f16_e32 v41, v121, v41
	v_fma_f16 v121, v32, s22, v43
	v_add_f16_e32 v38, v38, v42
	v_fma_f16 v42, v32, s24, v43
	v_mul_f16_e32 v43, 0x3b47, v28
	v_add_f16_e32 v42, v42, v44
	v_fma_f16 v44, v27, s4, v43
	v_add_f16_e32 v44, v44, v80
	v_mul_f16_e32 v80, 0x36a6, v29
	v_fma_f16 v43, v27, s4, -v43
	v_add_f16_e32 v78, v121, v78
	v_fma_f16 v121, v32, s3, v80
	v_add_f16_e32 v43, v43, v79
	v_fma_f16 v79, v32, s5, v80
	v_mul_f16_e32 v80, 0xb853, v28
	v_add_f16_e32 v79, v79, v81
	v_fma_f16 v81, v27, s16, v80
	v_add_f16_e32 v81, v81, v89
	v_mul_f16_e32 v89, 0x3abb, v29
	v_fma_f16 v80, v27, s16, -v80
	v_mul_f16_e32 v28, 0xba0c, v28
	v_add_f16_e32 v82, v121, v82
	v_fma_f16 v121, v32, s17, v89
	v_add_f16_e32 v80, v80, v87
	v_fma_f16 v87, v32, s13, v89
	v_fma_f16 v89, v27, s20, v28
	v_mul_f16_e32 v29, 0xb93d, v29
	v_fma_f16 v27, v27, s20, -v28
	v_add_f16_e32 v87, v87, v91
	v_fma_f16 v91, v32, s21, v29
	v_add_f16_e32 v15, v27, v15
	v_fma_f16 v27, v32, s19, v29
	v_sub_f16_e32 v32, v141, v145
	v_add_f16_e32 v89, v89, v92
	v_add_f16_e32 v21, v27, v21
	;; [unrolled: 1-line block ×3, first 2 shown]
	v_mul_f16_e32 v92, 0xba0c, v32
	v_add_f16_e32 v91, v91, v94
	v_add_f16_e32 v28, v141, v145
	v_fma_f16 v94, v27, s20, v92
	v_sub_f16_e32 v29, v140, v144
	v_add_f16_e32 v37, v94, v37
	v_mul_f16_e32 v94, 0xb93d, v28
	v_fma_f16 v92, v27, s20, -v92
	v_add_f16_e32 v35, v92, v35
	v_fma_f16 v92, v29, s19, v94
	v_add_f16_e32 v93, v123, v93
	v_add_f16_e32 v36, v92, v36
	v_mul_f16_e32 v92, 0x3beb, v32
	v_add_f16_e32 v93, v121, v93
	v_fma_f16 v121, v29, s21, v94
	v_fma_f16 v94, v27, s12, v92
	v_add_f16_e32 v39, v94, v39
	v_mul_f16_e32 v94, 0xb08e, v28
	v_fma_f16 v92, v27, s12, -v92
	v_add_f16_e32 v38, v92, v38
	v_fma_f16 v92, v29, s18, v94
	v_add_f16_e32 v42, v92, v42
	v_mul_f16_e32 v92, 0xb853, v32
	v_add_f16_e32 v41, v121, v41
	v_fma_f16 v121, v29, s2, v94
	v_fma_f16 v94, v27, s16, v92
	v_add_f16_e32 v44, v94, v44
	v_mul_f16_e32 v94, 0x3abb, v28
	v_fma_f16 v92, v27, s16, -v92
	v_add_f16_e32 v43, v92, v43
	v_fma_f16 v92, v29, s13, v94
	;; [unrolled: 10-line block ×3, first 2 shown]
	v_mul_f16_e32 v32, 0x3b47, v32
	v_add_f16_e32 v87, v92, v87
	v_fma_f16 v92, v27, s4, v32
	v_mul_f16_e32 v28, 0x36a6, v28
	v_add_f16_e32 v89, v92, v89
	v_fma_f16 v92, v29, s3, v28
	v_fma_f16 v27, v27, s4, -v32
	v_add_f16_e32 v82, v121, v82
	v_fma_f16 v121, v29, s24, v94
	v_add_f16_e32 v91, v92, v91
	v_add_f16_e32 v92, v27, v15
	v_fma_f16 v15, v29, s5, v28
	v_sub_f16_e32 v124, v30, v31
	v_add_f16_e32 v93, v121, v93
	v_add_f16_e32 v94, v15, v21
	;; [unrolled: 1-line block ×3, first 2 shown]
	v_mul_f16_e32 v15, 0xb482, v124
	v_add_f16_e32 v122, v30, v31
	v_fma_f16 v21, v121, s23, v15
	v_sub_f16_e32 v123, v142, v143
	v_add_f16_e32 v27, v21, v37
	v_mul_f16_e32 v21, 0xbbad, v122
	v_fma_f16 v15, v121, s23, -v15
	v_fma_f16 v28, v123, s24, v21
	v_add_f16_e32 v15, v15, v35
	v_fma_f16 v21, v123, s22, v21
	v_mul_f16_e32 v35, 0xba0c, v124
	v_add_f16_e32 v21, v21, v36
	v_mul_f16_e32 v29, 0x3853, v124
	v_fma_f16 v36, v121, s20, v35
	v_fma_f16 v30, v121, s16, v29
	v_fma_f16 v29, v121, s16, -v29
	v_add_f16_e32 v37, v36, v44
	v_mul_f16_e32 v36, 0xb93d, v122
	v_add_f16_e32 v28, v28, v41
	v_add_f16_e32 v29, v29, v38
	v_fma_f16 v38, v123, s21, v36
	v_mul_f16_e32 v41, 0x3b47, v124
	v_add_f16_e32 v31, v30, v39
	v_add_f16_e32 v38, v38, v82
	v_fma_f16 v39, v121, s4, v41
	v_add_f16_sdwa v82, v22, v95 dst_sel:DWORD dst_unused:UNUSED_PAD src0_sel:WORD_1 src1_sel:DWORD
	v_add_f16_e32 v39, v39, v81
	v_add_f16_e32 v81, v22, v147
	;; [unrolled: 1-line block ×9, first 2 shown]
	v_fma_f16 v36, v123, s19, v36
	v_add_f16_e32 v81, v81, v40
	v_add_f16_e32 v82, v82, v77
	v_mul_f16_e32 v30, 0x3abb, v122
	v_fma_f16 v35, v121, s20, -v35
	v_add_f16_e32 v36, v36, v79
	v_fma_f16 v41, v121, s4, -v41
	v_mul_f16_e32 v79, 0xbbeb, v124
	v_add_f16_e32 v81, v81, v76
	v_add_f16_e32 v82, v82, v86
	v_fma_f16 v32, v123, s13, v30
	v_fma_f16 v30, v123, s17, v30
	v_add_f16_e32 v35, v35, v43
	v_mul_f16_e32 v43, 0x36a6, v122
	v_add_f16_e32 v41, v41, v80
	v_fma_f16 v44, v121, s12, v79
	v_mul_f16_e32 v80, 0xb08e, v122
	v_fma_f16 v79, v121, s12, -v79
	v_add_f16_e32 v81, v81, v85
	v_add_f16_e32 v82, v82, v98
	;; [unrolled: 1-line block ×4, first 2 shown]
	v_fma_f16 v42, v123, s3, v43
	v_fma_f16 v43, v123, s5, v43
	v_add_f16_e32 v44, v44, v89
	v_fma_f16 v78, v123, s18, v80
	v_add_f16_e32 v79, v79, v92
	v_add_f16_e32 v81, v81, v88
	;; [unrolled: 1-line block ×4, first 2 shown]
	v_sub_f16_e32 v92, v95, v120
	v_add_f16_e32 v42, v42, v93
	v_add_f16_e32 v43, v43, v87
	;; [unrolled: 1-line block ×3, first 2 shown]
	v_fma_f16 v80, v123, s2, v80
	v_add_f16_e32 v81, v81, v118
	v_add_f16_e32 v82, v82, v120
	;; [unrolled: 1-line block ×3, first 2 shown]
	v_sub_f16_e32 v91, v147, v119
	v_mul_f16_e32 v93, 0xb853, v92
	v_mul_f16_e32 v95, 0x3abb, v89
	;; [unrolled: 1-line block ×10, first 2 shown]
	v_add_f16_e32 v80, v80, v94
	v_add_f16_e32 v81, v81, v119
	v_fma_f16 v94, v87, s16, v93
	v_fma_f16 v119, v91, s17, v95
	v_fma_f16 v93, v87, s16, -v93
	v_fma_f16 v95, v91, s13, v95
	v_fma_f16 v121, v87, s4, v120
	v_fma_f16 v123, v91, s5, v122
	v_fma_f16 v120, v87, s4, -v120
	v_fma_f16 v122, v91, s3, v122
	;; [unrolled: 4-line block ×5, first 2 shown]
	v_add_f16_e32 v91, v96, v90
	v_sub_f16_e32 v90, v96, v90
	v_add_f16_e32 v94, v22, v94
	v_add_f16_sdwa v119, v22, v119 dst_sel:DWORD dst_unused:UNUSED_PAD src0_sel:WORD_1 src1_sel:DWORD
	v_add_f16_e32 v93, v22, v93
	v_add_f16_sdwa v95, v22, v95 dst_sel:DWORD dst_unused:UNUSED_PAD src0_sel:WORD_1 src1_sel:DWORD
	;; [unrolled: 2-line block ×10, first 2 shown]
	v_add_f16_e32 v89, v148, v118
	v_mul_f16_e32 v96, 0xbb47, v90
	v_sub_f16_e32 v92, v148, v118
	v_fma_f16 v118, v89, s4, v96
	v_add_f16_e32 v94, v118, v94
	v_mul_f16_e32 v118, 0x36a6, v91
	v_fma_f16 v96, v89, s4, -v96
	v_add_f16_e32 v93, v96, v93
	v_fma_f16 v96, v92, s3, v118
	v_add_f16_e32 v95, v96, v95
	v_mul_f16_e32 v96, 0xba0c, v90
	v_fma_f16 v135, v92, s5, v118
	v_fma_f16 v118, v89, s20, v96
	v_add_f16_e32 v118, v118, v121
	v_mul_f16_e32 v121, 0xb93d, v91
	v_fma_f16 v96, v89, s20, -v96
	v_add_f16_e32 v119, v135, v119
	v_fma_f16 v135, v92, s21, v121
	v_add_f16_e32 v96, v96, v120
	v_fma_f16 v120, v92, s19, v121
	v_mul_f16_e32 v121, 0x3482, v90
	v_add_f16_e32 v120, v120, v122
	v_fma_f16 v122, v89, s23, v121
	v_add_f16_e32 v122, v122, v125
	v_mul_f16_e32 v125, 0xbbad, v91
	v_fma_f16 v121, v89, s23, -v121
	v_add_f16_e32 v123, v135, v123
	v_fma_f16 v135, v92, s22, v125
	v_add_f16_e32 v121, v121, v124
	v_fma_f16 v124, v92, s24, v125
	v_mul_f16_e32 v125, 0x3beb, v90
	v_add_f16_e32 v124, v124, v126
	v_fma_f16 v126, v89, s12, v125
	v_add_f16_e32 v126, v126, v129
	v_mul_f16_e32 v129, 0xb08e, v91
	v_fma_f16 v125, v89, s12, -v125
	v_mul_f16_e32 v90, 0x3853, v90
	v_add_f16_e32 v127, v135, v127
	v_fma_f16 v135, v92, s2, v129
	v_add_f16_e32 v125, v125, v128
	v_fma_f16 v128, v92, s18, v129
	v_fma_f16 v129, v89, s16, v90
	v_mul_f16_e32 v91, 0x3abb, v91
	v_fma_f16 v89, v89, s16, -v90
	v_add_f16_e32 v128, v128, v130
	v_fma_f16 v130, v92, s13, v91
	v_add_f16_e32 v87, v89, v87
	v_fma_f16 v89, v92, s17, v91
	v_sub_f16_e32 v91, v97, v98
	v_add_f16_e32 v22, v89, v22
	v_add_f16_e32 v89, v149, v88
	v_mul_f16_e32 v92, 0xbbeb, v91
	v_add_f16_e32 v90, v97, v98
	v_fma_f16 v97, v89, s12, v92
	v_sub_f16_e32 v88, v149, v88
	v_add_f16_e32 v94, v97, v94
	v_mul_f16_e32 v97, 0xb08e, v90
	v_fma_f16 v92, v89, s12, -v92
	v_add_f16_e32 v92, v92, v93
	v_fma_f16 v93, v88, s2, v97
	v_add_f16_e32 v93, v93, v95
	v_mul_f16_e32 v95, 0x3482, v91
	v_fma_f16 v98, v88, s18, v97
	v_fma_f16 v97, v89, s23, v95
	v_add_f16_e32 v97, v97, v118
	v_mul_f16_e32 v118, 0xbbad, v90
	v_fma_f16 v95, v89, s23, -v95
	v_add_f16_e32 v98, v98, v119
	v_fma_f16 v119, v88, s22, v118
	v_add_f16_e32 v95, v95, v96
	v_fma_f16 v96, v88, s24, v118
	v_mul_f16_e32 v118, 0x3b47, v91
	v_add_f16_e32 v96, v96, v120
	v_fma_f16 v120, v89, s4, v118
	v_add_f16_e32 v120, v120, v122
	v_mul_f16_e32 v122, 0x36a6, v90
	v_fma_f16 v118, v89, s4, -v118
	v_add_f16_e32 v119, v119, v123
	v_fma_f16 v123, v88, s3, v122
	v_add_f16_e32 v118, v118, v121
	v_fma_f16 v121, v88, s5, v122
	v_mul_f16_e32 v122, 0xb853, v91
	v_add_f16_e32 v121, v121, v124
	v_fma_f16 v124, v89, s16, v122
	v_add_f16_e32 v124, v124, v126
	v_mul_f16_e32 v126, 0x3abb, v90
	v_fma_f16 v122, v89, s16, -v122
	v_mul_f16_e32 v91, 0xba0c, v91
	v_add_f16_e32 v123, v123, v127
	v_fma_f16 v127, v88, s17, v126
	v_add_f16_e32 v122, v122, v125
	v_fma_f16 v125, v88, s13, v126
	v_fma_f16 v126, v89, s20, v91
	v_mul_f16_e32 v90, 0xb93d, v90
	v_fma_f16 v89, v89, s20, -v91
	v_add_f16_e32 v125, v125, v128
	v_fma_f16 v128, v88, s21, v90
	v_add_f16_e32 v87, v89, v87
	v_fma_f16 v88, v88, s19, v90
	v_add_f16_e32 v89, v84, v86
	v_sub_f16_e32 v84, v84, v86
	v_add_f16_e32 v22, v88, v22
	v_add_f16_e32 v88, v83, v85
	v_sub_f16_e32 v83, v83, v85
	v_mul_f16_e32 v85, 0xba0c, v84
	v_fma_f16 v86, v88, s20, v85
	v_mul_f16_e32 v90, 0xb93d, v89
	v_fma_f16 v85, v88, s20, -v85
	v_fma_f16 v91, v83, s21, v90
	v_add_f16_e32 v85, v85, v92
	v_fma_f16 v90, v83, s19, v90
	v_mul_f16_e32 v92, 0x3beb, v84
	v_add_f16_e32 v86, v86, v94
	v_add_f16_e32 v90, v90, v93
	v_fma_f16 v93, v88, s12, v92
	v_mul_f16_e32 v94, 0xb08e, v89
	v_fma_f16 v92, v88, s12, -v92
	v_add_f16_e32 v93, v93, v97
	v_fma_f16 v97, v83, s2, v94
	v_add_f16_e32 v92, v92, v95
	v_fma_f16 v94, v83, s18, v94
	v_mul_f16_e32 v95, 0xb853, v84
	v_add_f16_e32 v94, v94, v96
	v_fma_f16 v96, v88, s16, v95
	v_fma_f16 v95, v88, s16, -v95
	v_add_f16_e32 v91, v91, v98
	v_mul_f16_e32 v98, 0x3abb, v89
	v_add_f16_e32 v95, v95, v118
	v_mul_f16_e32 v118, 0xb482, v84
	v_add_f16_e32 v97, v97, v119
	v_add_f16_e32 v96, v96, v120
	v_fma_f16 v119, v83, s17, v98
	v_fma_f16 v98, v83, s13, v98
	;; [unrolled: 1-line block ×3, first 2 shown]
	v_fma_f16 v118, v88, s23, -v118
	v_mul_f16_e32 v84, 0x3b47, v84
	v_add_f16_e32 v98, v98, v121
	v_mul_f16_e32 v121, 0xbbad, v89
	v_add_f16_e32 v118, v118, v122
	v_fma_f16 v122, v88, s4, v84
	v_mul_f16_e32 v89, 0x36a6, v89
	v_fma_f16 v84, v88, s4, -v84
	v_add_f16_e32 v119, v119, v123
	v_add_f16_e32 v120, v120, v124
	v_fma_f16 v123, v83, s24, v121
	v_fma_f16 v121, v83, s22, v121
	;; [unrolled: 1-line block ×3, first 2 shown]
	v_add_f16_e32 v84, v84, v87
	v_fma_f16 v83, v83, s5, v89
	v_add_f16_e32 v87, v75, v77
	v_sub_f16_e32 v75, v75, v77
	v_add_f16_e32 v22, v83, v22
	v_add_f16_e32 v83, v40, v76
	v_sub_f16_e32 v40, v40, v76
	v_mul_f16_e32 v76, 0xb482, v75
	v_fma_f16 v77, v83, s23, v76
	v_add_f16_e32 v77, v77, v86
	v_mul_f16_e32 v86, 0xbbad, v87
	v_fma_f16 v76, v83, s23, -v76
	v_fma_f16 v88, v40, s24, v86
	v_add_f16_e32 v76, v76, v85
	v_fma_f16 v85, v40, s22, v86
	v_mul_f16_e32 v86, 0x3853, v75
	v_add_f16_e32 v85, v85, v90
	v_fma_f16 v89, v83, s16, v86
	v_mul_f16_e32 v90, 0x3abb, v87
	v_fma_f16 v86, v83, s16, -v86
	v_add_f16_e32 v88, v88, v91
	v_fma_f16 v91, v40, s13, v90
	v_add_f16_e32 v86, v86, v92
	v_fma_f16 v90, v40, s17, v90
	v_mul_f16_e32 v92, 0xba0c, v75
	v_add_f16_e32 v89, v89, v93
	v_add_f16_e32 v90, v90, v94
	v_fma_f16 v93, v83, s20, v92
	v_mul_f16_e32 v94, 0xb93d, v87
	v_fma_f16 v92, v83, s20, -v92
	v_add_f16_e32 v93, v93, v96
	v_fma_f16 v96, v40, s21, v94
	v_add_f16_e32 v92, v92, v95
	v_fma_f16 v94, v40, s19, v94
	v_mul_f16_e32 v95, 0x3b47, v75
	v_add_f16_e32 v91, v91, v97
	v_add_f16_e32 v94, v94, v98
	v_fma_f16 v97, v83, s4, v95
	v_mul_f16_e32 v98, 0x36a6, v87
	v_mul_f16_e32 v87, 0xb08e, v87
	v_add_f16_e32 v96, v96, v119
	v_add_f16_e32 v97, v97, v120
	v_fma_f16 v119, v40, s3, v98
	v_fma_f16 v98, v40, s5, v98
	;; [unrolled: 1-line block ×4, first 2 shown]
	v_fma_f16 v95, v83, s4, -v95
	v_mul_f16_e32 v75, 0xbbeb, v75
	v_add_f16_e32 v22, v40, v22
	v_add_f16_e32 v40, v19, v25
	v_add_f16_e32 v95, v95, v118
	v_fma_f16 v118, v83, s12, v75
	v_fma_f16 v75, v83, s12, -v75
	v_add_f16_sdwa v83, v19, v26 dst_sel:DWORD dst_unused:UNUSED_PAD src0_sel:WORD_1 src1_sel:DWORD
	v_add_f16_e32 v40, v40, v23
	v_add_f16_e32 v83, v83, v24
	;; [unrolled: 1-line block ×24, first 2 shown]
	v_sub_f16_e32 v26, v26, v34
	v_add_f16_e32 v122, v122, v126
	v_add_f16_e32 v124, v124, v128
	;; [unrolled: 1-line block ×8, first 2 shown]
	v_sub_f16_e32 v25, v25, v33
	v_mul_f16_e32 v33, 0xb853, v26
	v_mul_f16_e32 v121, 0x3abb, v87
	;; [unrolled: 1-line block ×10, first 2 shown]
	v_add_f16_e32 v118, v118, v122
	v_add_f16_e32 v120, v120, v124
	v_add_f16_e32 v83, v83, v34
	v_fma_f16 v34, v84, s16, v33
	v_fma_f16 v122, v25, s17, v121
	v_fma_f16 v33, v84, s16, -v33
	v_fma_f16 v121, v25, s13, v121
	v_fma_f16 v124, v84, s4, v123
	v_fma_f16 v126, v25, s5, v125
	v_fma_f16 v123, v84, s4, -v123
	v_fma_f16 v125, v25, s3, v125
	;; [unrolled: 4-line block ×5, first 2 shown]
	v_add_f16_e32 v84, v24, v14
	v_sub_f16_e32 v14, v24, v14
	v_add_f16_e32 v34, v19, v34
	v_add_f16_sdwa v122, v19, v122 dst_sel:DWORD dst_unused:UNUSED_PAD src0_sel:WORD_1 src1_sel:DWORD
	v_add_f16_e32 v33, v19, v33
	v_add_f16_sdwa v121, v19, v121 dst_sel:DWORD dst_unused:UNUSED_PAD src0_sel:WORD_1 src1_sel:DWORD
	;; [unrolled: 2-line block ×10, first 2 shown]
	v_add_f16_e32 v25, v23, v13
	v_sub_f16_e32 v13, v23, v13
	v_mul_f16_e32 v23, 0xbb47, v14
	v_fma_f16 v24, v25, s4, v23
	v_add_f16_e32 v24, v24, v34
	v_mul_f16_e32 v34, 0x36a6, v84
	v_fma_f16 v23, v25, s4, -v23
	v_fma_f16 v87, v13, s5, v34
	v_add_f16_e32 v23, v23, v33
	v_fma_f16 v33, v13, s3, v34
	v_mul_f16_e32 v34, 0xba0c, v14
	v_add_f16_e32 v87, v87, v122
	v_add_f16_e32 v33, v33, v121
	v_fma_f16 v121, v25, s20, v34
	v_mul_f16_e32 v122, 0xb93d, v84
	v_fma_f16 v34, v25, s20, -v34
	v_add_f16_e32 v121, v121, v124
	v_fma_f16 v124, v13, s21, v122
	v_add_f16_e32 v34, v34, v123
	v_fma_f16 v122, v13, s19, v122
	v_mul_f16_e32 v123, 0x3482, v14
	v_add_f16_e32 v124, v124, v126
	v_add_f16_e32 v122, v122, v125
	v_fma_f16 v125, v25, s23, v123
	v_mul_f16_e32 v126, 0xbbad, v84
	v_fma_f16 v123, v25, s23, -v123
	v_add_f16_e32 v125, v125, v128
	v_fma_f16 v128, v13, s22, v126
	v_add_f16_e32 v123, v123, v127
	v_fma_f16 v126, v13, s24, v126
	v_mul_f16_e32 v127, 0x3beb, v14
	v_add_f16_e32 v128, v128, v130
	v_add_f16_e32 v126, v126, v129
	v_fma_f16 v129, v25, s12, v127
	v_mul_f16_e32 v130, 0xb08e, v84
	v_add_f16_e32 v129, v129, v132
	v_fma_f16 v132, v13, s2, v130
	v_fma_f16 v127, v25, s12, -v127
	v_fma_f16 v130, v13, s18, v130
	v_mul_f16_e32 v14, 0x3853, v14
	v_mul_f16_e32 v84, 0x3abb, v84
	v_add_f16_e32 v127, v127, v131
	v_add_f16_e32 v130, v130, v134
	v_fma_f16 v131, v25, s16, v14
	v_fma_f16 v134, v13, s13, v84
	v_fma_f16 v14, v25, s16, -v14
	v_fma_f16 v13, v13, s17, v84
	v_add_f16_e32 v25, v10, v12
	v_sub_f16_e32 v10, v10, v12
	v_add_f16_e32 v13, v13, v19
	v_add_f16_e32 v19, v20, v11
	v_mul_f16_e32 v12, 0xbbeb, v10
	v_sub_f16_e32 v11, v20, v11
	v_fma_f16 v20, v19, s12, v12
	v_add_f16_e32 v20, v20, v24
	v_mul_f16_e32 v24, 0xb08e, v25
	v_fma_f16 v12, v19, s12, -v12
	v_add_f16_e32 v14, v14, v26
	v_fma_f16 v26, v11, s18, v24
	v_add_f16_e32 v12, v12, v23
	v_fma_f16 v23, v11, s2, v24
	v_mul_f16_e32 v24, 0x3482, v10
	v_add_f16_e32 v23, v23, v33
	v_fma_f16 v33, v19, s23, v24
	v_mul_f16_e32 v84, 0xbbad, v25
	v_fma_f16 v24, v19, s23, -v24
	v_add_f16_e32 v26, v26, v87
	v_fma_f16 v87, v11, s22, v84
	v_add_f16_e32 v24, v24, v34
	v_fma_f16 v34, v11, s24, v84
	v_mul_f16_e32 v84, 0x3b47, v10
	v_add_f16_e32 v33, v33, v121
	v_fma_f16 v121, v19, s4, v84
	v_fma_f16 v84, v19, s4, -v84
	v_add_f16_e32 v34, v34, v122
	v_mul_f16_e32 v122, 0x36a6, v25
	v_add_f16_e32 v84, v84, v123
	v_mul_f16_e32 v123, 0xb853, v10
	v_add_f16_e32 v87, v87, v124
	v_add_f16_e32 v121, v121, v125
	v_fma_f16 v124, v11, s3, v122
	v_fma_f16 v122, v11, s5, v122
	;; [unrolled: 1-line block ×3, first 2 shown]
	v_fma_f16 v123, v19, s16, -v123
	v_mul_f16_e32 v10, 0xba0c, v10
	v_add_f16_e32 v122, v122, v126
	v_mul_f16_e32 v126, 0x3abb, v25
	v_add_f16_e32 v123, v123, v127
	v_fma_f16 v127, v19, s20, v10
	v_mul_f16_e32 v25, 0xb93d, v25
	v_fma_f16 v10, v19, s20, -v10
	v_add_f16_e32 v124, v124, v128
	v_add_f16_e32 v125, v125, v129
	v_fma_f16 v128, v11, s17, v126
	v_fma_f16 v126, v11, s13, v126
	;; [unrolled: 1-line block ×3, first 2 shown]
	v_add_f16_e32 v10, v10, v14
	v_fma_f16 v11, v11, s19, v25
	v_add_f16_e32 v14, v7, v9
	v_sub_f16_e32 v7, v7, v9
	v_add_f16_e32 v11, v11, v13
	v_add_f16_e32 v13, v6, v8
	v_sub_f16_e32 v6, v6, v8
	v_mul_f16_e32 v8, 0xba0c, v7
	v_fma_f16 v9, v13, s20, v8
	v_mul_f16_e32 v19, 0xb93d, v14
	v_fma_f16 v8, v13, s20, -v8
	v_add_f16_e32 v9, v9, v20
	v_fma_f16 v20, v6, s21, v19
	v_add_f16_e32 v8, v8, v12
	v_fma_f16 v12, v6, s19, v19
	v_mul_f16_e32 v19, 0x3beb, v7
	v_add_f16_e32 v12, v12, v23
	v_fma_f16 v23, v13, s12, v19
	v_mul_f16_e32 v25, 0xb08e, v14
	v_fma_f16 v19, v13, s12, -v19
	v_add_f16_e32 v20, v20, v26
	v_fma_f16 v26, v6, s2, v25
	v_add_f16_e32 v19, v19, v24
	v_fma_f16 v24, v6, s18, v25
	v_mul_f16_e32 v25, 0xb853, v7
	v_add_f16_e32 v23, v23, v33
	v_add_f16_e32 v24, v24, v34
	v_fma_f16 v33, v13, s16, v25
	v_mul_f16_e32 v34, 0x3abb, v14
	v_fma_f16 v25, v13, s16, -v25
	v_add_f16_e32 v26, v26, v87
	v_fma_f16 v87, v6, s17, v34
	v_add_f16_e32 v25, v25, v84
	v_fma_f16 v34, v6, s13, v34
	v_mul_f16_e32 v84, 0xb482, v7
	v_add_f16_e32 v33, v33, v121
	v_add_f16_e32 v34, v34, v122
	v_fma_f16 v121, v13, s23, v84
	v_mul_f16_e32 v122, 0xbbad, v14
	v_mul_f16_e32 v14, 0x36a6, v14
	v_add_f16_e32 v87, v87, v124
	v_add_f16_e32 v121, v121, v125
	v_fma_f16 v124, v6, s24, v122
	v_fma_f16 v84, v13, s23, -v84
	v_fma_f16 v122, v6, s22, v122
	v_mul_f16_e32 v7, 0x3b47, v7
	v_fma_f16 v125, v6, s3, v14
	v_fma_f16 v6, v6, s5, v14
	v_pack_b32_f16 v0, v0, v1
	v_pack_b32_f16 v1, v27, v28
	v_add_f16_e32 v84, v84, v123
	v_fma_f16 v123, v13, s4, v7
	v_fma_f16 v7, v13, s4, -v7
	v_add_f16_e32 v6, v6, v11
	v_add_f16_e32 v11, v3, v5
	v_sub_f16_e32 v3, v3, v5
	s_waitcnt lgkmcnt(0)
	; wave barrier
	ds_write2_b32 v99, v0, v1 offset1:51
	v_pack_b32_f16 v0, v31, v32
	v_pack_b32_f16 v1, v37, v38
	v_add_f16_e32 v7, v7, v10
	v_add_f16_e32 v10, v2, v4
	v_sub_f16_e32 v2, v2, v4
	v_mul_f16_e32 v4, 0xb482, v3
	ds_write2_b32 v99, v0, v1 offset0:102 offset1:153
	v_pack_b32_f16 v0, v39, v42
	v_pack_b32_f16 v1, v44, v78
	v_fma_f16 v5, v10, s23, v4
	ds_write2_b32 v99, v0, v1 offset0:204 offset1:255
	v_pack_b32_f16 v0, v79, v80
	v_pack_b32_f16 v1, v41, v43
	v_add_f16_e32 v5, v5, v9
	v_mul_f16_e32 v9, 0xbbad, v11
	v_fma_f16 v4, v10, s23, -v4
	ds_write2_b32 v74, v0, v1 offset0:50 offset1:101
	v_pack_b32_f16 v0, v35, v36
	v_pack_b32_f16 v1, v29, v30
	v_fma_f16 v13, v2, s24, v9
	v_add_f16_e32 v4, v4, v8
	v_fma_f16 v8, v2, s22, v9
	v_mul_f16_e32 v9, 0x3853, v3
	ds_write2_b32 v74, v0, v1 offset0:152 offset1:203
	v_pack_b32_f16 v0, v15, v21
	v_pack_b32_f16 v1, v81, v82
	v_add_f16_e32 v8, v8, v12
	v_fma_f16 v12, v10, s16, v9
	v_mul_f16_e32 v14, 0x3abb, v11
	v_fma_f16 v9, v10, s16, -v9
	ds_write2_b32 v71, v0, v1 offset0:126 offset1:177
	v_pack_b32_f16 v0, v77, v88
	v_pack_b32_f16 v1, v89, v91
	v_add_f16_e32 v13, v13, v20
	v_fma_f16 v20, v2, s13, v14
	v_add_f16_e32 v9, v9, v19
	v_fma_f16 v14, v2, s17, v14
	v_mul_f16_e32 v19, 0xba0c, v3
	ds_write2_b32 v70, v0, v1 offset0:100 offset1:151
	v_pack_b32_f16 v0, v93, v96
	v_pack_b32_f16 v1, v97, v119
	v_add_f16_e32 v12, v12, v23
	v_add_f16_e32 v14, v14, v24
	v_fma_f16 v23, v10, s20, v19
	v_mul_f16_e32 v24, 0xb93d, v11
	v_fma_f16 v19, v10, s20, -v19
	ds_write2_b32 v70, v0, v1 offset0:202 offset1:253
	v_pack_b32_f16 v0, v118, v120
	v_pack_b32_f16 v1, v75, v22
	v_add_f16_e32 v132, v132, v135
	v_add_f16_e32 v131, v131, v136
	;; [unrolled: 1-line block ×4, first 2 shown]
	v_fma_f16 v26, v2, s21, v24
	v_add_f16_e32 v19, v19, v25
	v_fma_f16 v24, v2, s19, v24
	v_mul_f16_e32 v25, 0x3b47, v3
	ds_write2_b32 v69, v0, v1 offset0:48 offset1:99
	v_pack_b32_f16 v0, v95, v98
	v_pack_b32_f16 v1, v92, v94
	v_add_f16_e32 v128, v128, v132
	v_add_f16_e32 v127, v127, v131
	;; [unrolled: 1-line block ×5, first 2 shown]
	v_fma_f16 v33, v10, s4, v25
	v_mul_f16_e32 v34, 0x36a6, v11
	v_fma_f16 v25, v10, s4, -v25
	v_mul_f16_e32 v3, 0xbbeb, v3
	v_mul_f16_e32 v11, 0xb08e, v11
	ds_write2_b32 v69, v0, v1 offset0:150 offset1:201
	v_pack_b32_f16 v0, v86, v90
	v_pack_b32_f16 v1, v76, v85
	v_add_f16_e32 v126, v126, v130
	v_add_f16_e32 v124, v124, v128
	;; [unrolled: 1-line block ×6, first 2 shown]
	v_fma_f16 v87, v2, s3, v34
	v_add_f16_e32 v25, v25, v84
	v_fma_f16 v84, v10, s12, v3
	v_fma_f16 v121, v2, s18, v11
	ds_write2_b32 v73, v0, v1 offset0:124 offset1:175
	v_pack_b32_f16 v0, v40, v83
	v_pack_b32_f16 v1, v5, v13
	v_add_u32_e32 v5, 0x1000, v133
	v_add_f16_e32 v122, v122, v126
	v_add_f16_e32 v87, v87, v124
	v_fma_f16 v34, v2, s5, v34
	v_add_f16_e32 v84, v84, v123
	v_add_f16_e32 v121, v121, v125
	v_fma_f16 v3, v10, s12, -v3
	v_fma_f16 v2, v2, s2, v11
	ds_write2_b32 v5, v0, v1 offset0:98 offset1:149
	v_pack_b32_f16 v0, v12, v20
	v_pack_b32_f16 v1, v23, v26
	v_add_f16_e32 v34, v34, v122
	v_add_f16_e32 v3, v3, v7
	;; [unrolled: 1-line block ×3, first 2 shown]
	ds_write2_b32 v5, v0, v1 offset0:200 offset1:251
	v_pack_b32_f16 v0, v33, v87
	v_pack_b32_f16 v1, v84, v121
	v_add_u32_e32 v5, 0x1400, v133
	ds_write2_b32 v5, v0, v1 offset0:46 offset1:97
	v_pack_b32_f16 v0, v3, v2
	v_pack_b32_f16 v1, v25, v34
	ds_write2_b32 v5, v0, v1 offset0:148 offset1:199
	v_pack_b32_f16 v0, v19, v24
	v_pack_b32_f16 v1, v9, v14
	v_add_u32_e32 v2, 0x1600, v133
	ds_write2_b32 v2, v0, v1 offset0:122 offset1:173
	v_pack_b32_f16 v0, v4, v8
	ds_write_b32 v133, v0 offset:6528
	s_waitcnt lgkmcnt(0)
	; wave barrier
	s_waitcnt lgkmcnt(0)
	ds_read2_b32 v[0:1], v99 offset1:51
	ds_read2_b32 v[2:3], v71 offset0:126 offset1:177
	ds_read2_b32 v[4:5], v68 offset0:98 offset1:149
	;; [unrolled: 1-line block ×5, first 2 shown]
	s_waitcnt lgkmcnt(4)
	v_lshrrev_b32_e32 v36, 16, v3
	v_mul_f16_sdwa v118, v45, v36 dst_sel:DWORD dst_unused:UNUSED_PAD src0_sel:WORD_1 src1_sel:DWORD
	s_waitcnt lgkmcnt(3)
	v_lshrrev_b32_e32 v37, 16, v4
	v_fma_f16 v118, v45, v3, v118
	v_mul_f16_sdwa v3, v45, v3 dst_sel:DWORD dst_unused:UNUSED_PAD src0_sel:WORD_1 src1_sel:DWORD
	v_fma_f16 v3, v45, v36, -v3
	v_mul_f16_sdwa v36, v46, v37 dst_sel:DWORD dst_unused:UNUSED_PAD src0_sel:WORD_1 src1_sel:DWORD
	s_waitcnt lgkmcnt(2)
	v_lshrrev_b32_e32 v39, 16, v6
	v_fma_f16 v36, v46, v4, v36
	v_mul_f16_sdwa v4, v46, v4 dst_sel:DWORD dst_unused:UNUSED_PAD src0_sel:WORD_1 src1_sel:DWORD
	ds_read2_b32 v[31:32], v67 offset0:122 offset1:173
	v_fma_f16 v4, v46, v37, -v4
	v_mul_f16_sdwa v37, v47, v39 dst_sel:DWORD dst_unused:UNUSED_PAD src0_sel:WORD_1 src1_sel:DWORD
	ds_read2_b32 v[10:11], v68 offset0:200 offset1:251
	v_lshrrev_b32_e32 v40, 16, v5
	ds_read2_b32 v[27:28], v69 offset0:150 offset1:201
	v_fma_f16 v37, v47, v6, v37
	v_mul_f16_sdwa v6, v47, v6 dst_sel:DWORD dst_unused:UNUSED_PAD src0_sel:WORD_1 src1_sel:DWORD
	ds_read2_b32 v[33:34], v73 offset0:124 offset1:175
	v_fma_f16 v6, v47, v39, -v6
	v_mul_f16_sdwa v39, v48, v40 dst_sel:DWORD dst_unused:UNUSED_PAD src0_sel:WORD_1 src1_sel:DWORD
	v_lshrrev_b32_e32 v42, 16, v7
	s_waitcnt lgkmcnt(5)
	v_lshrrev_b32_e32 v81, 16, v21
	v_fma_f16 v39, v48, v5, v39
	v_mul_f16_sdwa v5, v48, v5 dst_sel:DWORD dst_unused:UNUSED_PAD src0_sel:WORD_1 src1_sel:DWORD
	s_waitcnt lgkmcnt(4)
	v_lshrrev_b32_e32 v79, 16, v19
	v_fma_f16 v5, v48, v40, -v5
	v_mul_f16_sdwa v40, v49, v42 dst_sel:DWORD dst_unused:UNUSED_PAD src0_sel:WORD_1 src1_sel:DWORD
	v_mul_f16_sdwa v48, v55, v81 dst_sel:DWORD dst_unused:UNUSED_PAD src0_sel:WORD_1 src1_sel:DWORD
	v_lshrrev_b32_e32 v82, 16, v20
	s_waitcnt lgkmcnt(3)
	v_lshrrev_b32_e32 v91, 16, v31
	v_fma_f16 v40, v49, v7, v40
	v_mul_f16_sdwa v7, v49, v7 dst_sel:DWORD dst_unused:UNUSED_PAD src0_sel:WORD_1 src1_sel:DWORD
	v_mul_f16_sdwa v47, v54, v79 dst_sel:DWORD dst_unused:UNUSED_PAD src0_sel:WORD_1 src1_sel:DWORD
	v_fma_f16 v48, v55, v21, v48
	v_mul_f16_sdwa v21, v55, v21 dst_sel:DWORD dst_unused:UNUSED_PAD src0_sel:WORD_1 src1_sel:DWORD
	s_waitcnt lgkmcnt(2)
	v_lshrrev_b32_e32 v43, 16, v10
	s_waitcnt lgkmcnt(1)
	v_lshrrev_b32_e32 v90, 16, v28
	v_fma_f16 v7, v49, v42, -v7
	v_fma_f16 v47, v54, v19, v47
	v_mul_f16_sdwa v19, v54, v19 dst_sel:DWORD dst_unused:UNUSED_PAD src0_sel:WORD_1 src1_sel:DWORD
	v_fma_f16 v21, v55, v81, -v21
	v_mul_f16_sdwa v49, v56, v82 dst_sel:DWORD dst_unused:UNUSED_PAD src0_sel:WORD_1 src1_sel:DWORD
	v_mul_f16_sdwa v55, v62, v91 dst_sel:DWORD dst_unused:UNUSED_PAD src0_sel:WORD_1 src1_sel:DWORD
	s_waitcnt lgkmcnt(0)
	v_lshrrev_b32_e32 v94, 16, v33
	v_mul_f16_sdwa v42, v50, v43 dst_sel:DWORD dst_unused:UNUSED_PAD src0_sel:WORD_1 src1_sel:DWORD
	v_fma_f16 v19, v54, v79, -v19
	v_fma_f16 v49, v56, v20, v49
	v_mul_f16_sdwa v20, v56, v20 dst_sel:DWORD dst_unused:UNUSED_PAD src0_sel:WORD_1 src1_sel:DWORD
	v_mul_f16_sdwa v54, v61, v90 dst_sel:DWORD dst_unused:UNUSED_PAD src0_sel:WORD_1 src1_sel:DWORD
	v_fma_f16 v55, v62, v31, v55
	v_mul_f16_sdwa v31, v62, v31 dst_sel:DWORD dst_unused:UNUSED_PAD src0_sel:WORD_1 src1_sel:DWORD
	v_lshrrev_b32_e32 v84, 16, v22
	v_fma_f16 v42, v50, v10, v42
	v_mul_f16_sdwa v10, v50, v10 dst_sel:DWORD dst_unused:UNUSED_PAD src0_sel:WORD_1 src1_sel:DWORD
	v_fma_f16 v20, v56, v82, -v20
	v_fma_f16 v54, v61, v28, v54
	v_mul_f16_sdwa v28, v61, v28 dst_sel:DWORD dst_unused:UNUSED_PAD src0_sel:WORD_1 src1_sel:DWORD
	v_fma_f16 v31, v62, v91, -v31
	v_mul_f16_sdwa v56, v63, v94 dst_sel:DWORD dst_unused:UNUSED_PAD src0_sel:WORD_1 src1_sel:DWORD
	v_add_f16_e32 v62, v118, v36
	v_lshrrev_b32_e32 v35, 16, v0
	v_fma_f16 v10, v50, v43, -v10
	v_mul_f16_sdwa v50, v57, v84 dst_sel:DWORD dst_unused:UNUSED_PAD src0_sel:WORD_1 src1_sel:DWORD
	v_fma_f16 v28, v61, v90, -v28
	v_fma_f16 v56, v63, v33, v56
	v_mul_f16_sdwa v33, v63, v33 dst_sel:DWORD dst_unused:UNUSED_PAD src0_sel:WORD_1 src1_sel:DWORD
	v_add_f16_e32 v61, v0, v118
	v_fma_f16 v0, v62, -0.5, v0
	v_sub_f16_e32 v62, v3, v4
	ds_read2_b32 v[12:13], v70 offset0:202 offset1:253
	v_lshrrev_b32_e32 v95, 16, v32
	v_fma_f16 v50, v57, v22, v50
	v_mul_f16_sdwa v22, v57, v22 dst_sel:DWORD dst_unused:UNUSED_PAD src0_sel:WORD_1 src1_sel:DWORD
	v_fma_f16 v33, v63, v94, -v33
	v_fma_f16 v63, v62, s0, v0
	v_fma_f16 v0, v62, s1, v0
	v_add_f16_e32 v62, v35, v3
	v_add_f16_e32 v3, v3, v4
	ds_read2_b32 v[8:9], v99 offset0:102 offset1:153
	v_fma_f16 v22, v57, v84, -v22
	v_mul_f16_sdwa v57, v64, v95 dst_sel:DWORD dst_unused:UNUSED_PAD src0_sel:WORD_1 src1_sel:DWORD
	v_add_f16_e32 v61, v61, v36
	v_add_f16_e32 v62, v62, v4
	v_fma_f16 v3, v3, -0.5, v35
	v_sub_f16_e32 v4, v118, v36
	v_add_f16_e32 v36, v37, v39
	v_lshrrev_b32_e32 v38, 16, v1
	v_fma_f16 v57, v64, v32, v57
	v_mul_f16_sdwa v32, v64, v32 dst_sel:DWORD dst_unused:UNUSED_PAD src0_sel:WORD_1 src1_sel:DWORD
	v_fma_f16 v35, v4, s1, v3
	v_fma_f16 v3, v4, s0, v3
	v_add_f16_e32 v4, v1, v37
	v_fma_f16 v1, v36, -0.5, v1
	v_sub_f16_e32 v36, v6, v5
	v_fma_f16 v32, v64, v95, -v32
	v_fma_f16 v64, v36, s0, v1
	v_fma_f16 v1, v36, s1, v1
	v_add_f16_e32 v36, v38, v6
	v_add_f16_e32 v36, v36, v5
	;; [unrolled: 1-line block ×3, first 2 shown]
	s_waitcnt lgkmcnt(1)
	v_lshrrev_b32_e32 v75, 16, v12
	v_lshrrev_b32_e32 v76, 16, v11
	v_fma_f16 v5, v5, -0.5, v38
	v_sub_f16_e32 v6, v37, v39
	v_add_f16_e32 v38, v40, v42
	s_waitcnt lgkmcnt(0)
	v_lshrrev_b32_e32 v41, 16, v8
	v_mul_f16_sdwa v43, v51, v75 dst_sel:DWORD dst_unused:UNUSED_PAD src0_sel:WORD_1 src1_sel:DWORD
	v_mul_f16_sdwa v45, v52, v76 dst_sel:DWORD dst_unused:UNUSED_PAD src0_sel:WORD_1 src1_sel:DWORD
	v_fma_f16 v37, v6, s1, v5
	v_fma_f16 v5, v6, s0, v5
	v_add_f16_e32 v6, v8, v40
	v_fma_f16 v8, v38, -0.5, v8
	v_sub_f16_e32 v38, v7, v10
	ds_read2_b32 v[25:26], v72 offset0:148 offset1:199
	v_fma_f16 v43, v51, v12, v43
	v_mul_f16_sdwa v12, v51, v12 dst_sel:DWORD dst_unused:UNUSED_PAD src0_sel:WORD_1 src1_sel:DWORD
	v_fma_f16 v45, v52, v11, v45
	v_mul_f16_sdwa v11, v52, v11 dst_sel:DWORD dst_unused:UNUSED_PAD src0_sel:WORD_1 src1_sel:DWORD
	v_add_f16_e32 v4, v4, v39
	v_fma_f16 v39, v38, s0, v8
	v_fma_f16 v8, v38, s1, v8
	v_add_f16_e32 v38, v41, v7
	v_add_f16_e32 v7, v7, v10
	ds_read2_b32 v[14:15], v99 offset0:204 offset1:255
	v_fma_f16 v12, v51, v75, -v12
	v_fma_f16 v11, v52, v76, -v11
	v_add_f16_e32 v38, v38, v10
	v_fma_f16 v7, v7, -0.5, v41
	v_sub_f16_e32 v10, v40, v42
	v_add_f16_e32 v41, v43, v45
	v_lshrrev_b32_e32 v44, 16, v9
	v_lshrrev_b32_e32 v78, 16, v13
	v_fma_f16 v40, v10, s1, v7
	v_fma_f16 v7, v10, s0, v7
	v_add_f16_e32 v10, v9, v43
	v_fma_f16 v9, v41, -0.5, v9
	v_sub_f16_e32 v41, v12, v11
	v_mul_f16_sdwa v46, v53, v78 dst_sel:DWORD dst_unused:UNUSED_PAD src0_sel:WORD_1 src1_sel:DWORD
	v_add_f16_e32 v6, v6, v42
	v_fma_f16 v42, v41, s0, v9
	v_fma_f16 v9, v41, s1, v9
	v_add_f16_e32 v41, v44, v12
	v_fma_f16 v46, v53, v13, v46
	v_mul_f16_sdwa v13, v53, v13 dst_sel:DWORD dst_unused:UNUSED_PAD src0_sel:WORD_1 src1_sel:DWORD
	v_add_f16_e32 v41, v41, v11
	v_add_f16_e32 v11, v12, v11
	s_waitcnt lgkmcnt(1)
	v_lshrrev_b32_e32 v85, 16, v25
	v_fma_f16 v13, v53, v78, -v13
	v_fma_f16 v11, v11, -0.5, v44
	v_sub_f16_e32 v12, v43, v45
	v_add_f16_e32 v44, v46, v47
	s_waitcnt lgkmcnt(0)
	v_lshrrev_b32_e32 v77, 16, v14
	v_mul_f16_sdwa v51, v58, v85 dst_sel:DWORD dst_unused:UNUSED_PAD src0_sel:WORD_1 src1_sel:DWORD
	v_fma_f16 v43, v12, s1, v11
	v_fma_f16 v11, v12, s0, v11
	v_add_f16_e32 v12, v14, v46
	v_fma_f16 v14, v44, -0.5, v14
	v_sub_f16_e32 v44, v13, v19
	ds_read_b32 v93, v99 offset:6528
	v_lshrrev_b32_e32 v97, 16, v34
	v_fma_f16 v51, v58, v25, v51
	v_mul_f16_sdwa v25, v58, v25 dst_sel:DWORD dst_unused:UNUSED_PAD src0_sel:WORD_1 src1_sel:DWORD
	v_add_f16_e32 v10, v10, v45
	v_fma_f16 v45, v44, s0, v14
	v_fma_f16 v14, v44, s1, v14
	v_add_f16_e32 v44, v77, v13
	v_add_f16_e32 v13, v13, v19
	ds_read2_b32 v[23:24], v74 offset0:50 offset1:101
	v_fma_f16 v25, v58, v85, -v25
	v_mul_f16_sdwa v58, v65, v97 dst_sel:DWORD dst_unused:UNUSED_PAD src0_sel:WORD_1 src1_sel:DWORD
	v_add_f16_e32 v12, v12, v47
	v_add_f16_e32 v44, v44, v19
	v_fma_f16 v13, v13, -0.5, v77
	v_sub_f16_e32 v19, v46, v47
	v_add_f16_e32 v47, v48, v49
	v_lshrrev_b32_e32 v80, 16, v15
	v_fma_f16 v58, v65, v34, v58
	v_mul_f16_sdwa v34, v65, v34 dst_sel:DWORD dst_unused:UNUSED_PAD src0_sel:WORD_1 src1_sel:DWORD
	v_fma_f16 v46, v19, s1, v13
	v_fma_f16 v13, v19, s0, v13
	v_add_f16_e32 v19, v15, v48
	v_fma_f16 v15, v47, -0.5, v15
	v_sub_f16_e32 v47, v21, v20
	v_lshrrev_b32_e32 v87, 16, v27
	v_lshrrev_b32_e32 v88, 16, v26
	v_fma_f16 v34, v65, v97, -v34
	v_fma_f16 v65, v47, s0, v15
	v_fma_f16 v15, v47, s1, v15
	v_add_f16_e32 v47, v80, v21
	v_mul_f16_sdwa v52, v59, v87 dst_sel:DWORD dst_unused:UNUSED_PAD src0_sel:WORD_1 src1_sel:DWORD
	v_mul_f16_sdwa v53, v60, v88 dst_sel:DWORD dst_unused:UNUSED_PAD src0_sel:WORD_1 src1_sel:DWORD
	v_add_f16_e32 v47, v47, v20
	v_add_f16_e32 v20, v21, v20
	s_waitcnt lgkmcnt(1)
	v_lshrrev_b32_e32 v98, 16, v93
	v_fma_f16 v52, v59, v27, v52
	v_mul_f16_sdwa v27, v59, v27 dst_sel:DWORD dst_unused:UNUSED_PAD src0_sel:WORD_1 src1_sel:DWORD
	v_fma_f16 v53, v60, v26, v53
	v_mul_f16_sdwa v26, v60, v26 dst_sel:DWORD dst_unused:UNUSED_PAD src0_sel:WORD_1 src1_sel:DWORD
	v_add_f16_e32 v19, v19, v49
	v_fma_f16 v20, v20, -0.5, v80
	v_sub_f16_e32 v21, v48, v49
	v_add_f16_e32 v49, v50, v51
	s_waitcnt lgkmcnt(0)
	v_lshrrev_b32_e32 v83, 16, v23
	v_fma_f16 v27, v59, v87, -v27
	v_fma_f16 v26, v60, v88, -v26
	v_mul_f16_sdwa v59, v66, v98 dst_sel:DWORD dst_unused:UNUSED_PAD src0_sel:WORD_1 src1_sel:DWORD
	v_mul_f16_sdwa v60, v66, v93 dst_sel:DWORD dst_unused:UNUSED_PAD src0_sel:WORD_1 src1_sel:DWORD
	v_fma_f16 v48, v21, s1, v20
	v_fma_f16 v20, v21, s0, v20
	v_add_f16_e32 v21, v23, v50
	v_fma_f16 v23, v49, -0.5, v23
	v_sub_f16_e32 v49, v22, v25
	v_fma_f16 v59, v66, v93, v59
	v_fma_f16 v60, v66, v98, -v60
	v_fma_f16 v66, v49, s0, v23
	v_fma_f16 v23, v49, s1, v23
	v_add_f16_e32 v49, v83, v22
	v_add_f16_e32 v22, v22, v25
	ds_read2_b32 v[29:30], v74 offset0:152 offset1:203
	v_add_f16_e32 v21, v21, v51
	v_add_f16_e32 v49, v49, v25
	v_fma_f16 v22, v22, -0.5, v83
	v_sub_f16_e32 v25, v50, v51
	v_add_f16_e32 v51, v52, v53
	v_lshrrev_b32_e32 v86, 16, v24
	v_fma_f16 v50, v25, s1, v22
	v_fma_f16 v22, v25, s0, v22
	v_add_f16_e32 v25, v24, v52
	v_fma_f16 v24, v51, -0.5, v24
	v_sub_f16_e32 v51, v27, v26
	v_fma_f16 v75, v51, s0, v24
	v_fma_f16 v24, v51, s1, v24
	v_add_f16_e32 v51, v86, v27
	v_add_f16_e32 v51, v51, v26
	;; [unrolled: 1-line block ×4, first 2 shown]
	v_fma_f16 v26, v26, -0.5, v86
	v_sub_f16_e32 v27, v52, v53
	v_add_f16_e32 v53, v54, v55
	s_waitcnt lgkmcnt(0)
	v_lshrrev_b32_e32 v89, 16, v29
	v_fma_f16 v52, v27, s1, v26
	v_fma_f16 v26, v27, s0, v26
	v_add_f16_e32 v27, v29, v54
	v_fma_f16 v29, v53, -0.5, v29
	v_sub_f16_e32 v53, v28, v31
	v_fma_f16 v76, v53, s0, v29
	v_fma_f16 v29, v53, s1, v29
	v_add_f16_e32 v53, v89, v28
	v_add_f16_e32 v28, v28, v31
	;; [unrolled: 1-line block ×4, first 2 shown]
	v_fma_f16 v28, v28, -0.5, v89
	v_sub_f16_e32 v31, v54, v55
	v_add_f16_e32 v55, v56, v57
	v_lshrrev_b32_e32 v92, 16, v30
	v_fma_f16 v54, v31, s1, v28
	v_fma_f16 v28, v31, s0, v28
	v_add_f16_e32 v31, v30, v56
	v_fma_f16 v30, v55, -0.5, v30
	v_sub_f16_e32 v55, v33, v32
	v_fma_f16 v77, v55, s0, v30
	v_fma_f16 v30, v55, s1, v30
	v_add_f16_e32 v55, v92, v33
	v_add_f16_e32 v55, v55, v32
	;; [unrolled: 1-line block ×4, first 2 shown]
	v_fma_f16 v32, v32, -0.5, v92
	v_sub_f16_e32 v33, v56, v57
	v_add_f16_e32 v57, v58, v59
	v_lshrrev_b32_e32 v96, 16, v2
	v_fma_f16 v56, v33, s1, v32
	v_fma_f16 v32, v33, s0, v32
	v_add_f16_e32 v33, v2, v58
	v_fma_f16 v2, v57, -0.5, v2
	v_sub_f16_e32 v57, v34, v60
	v_fma_f16 v78, v57, s0, v2
	v_fma_f16 v2, v57, s1, v2
	v_add_f16_e32 v57, v96, v34
	v_add_f16_e32 v34, v34, v60
	v_fma_f16 v34, v34, -0.5, v96
	v_sub_f16_e32 v58, v58, v59
	v_add_f16_e32 v33, v33, v59
	v_fma_f16 v59, v58, s1, v34
	v_fma_f16 v34, v58, s0, v34
	v_pack_b32_f16 v58, v61, v62
	v_pack_b32_f16 v0, v0, v3
	;; [unrolled: 1-line block ×4, first 2 shown]
	ds_write2_b32 v99, v58, v3 offset1:51
	v_pack_b32_f16 v3, v64, v37
	ds_write2_b32 v68, v0, v1 offset0:98 offset1:149
	v_pack_b32_f16 v1, v39, v40
	v_pack_b32_f16 v0, v6, v38
	ds_write2_b32 v70, v3, v1 offset0:100 offset1:151
	v_pack_b32_f16 v3, v10, v41
	;; [unrolled: 3-line block ×11, first 2 shown]
	v_add_f16_e32 v57, v57, v60
	v_pack_b32_f16 v0, v29, v28
	ds_write2_b32 v74, v1, v3 offset0:152 offset1:203
	v_pack_b32_f16 v3, v30, v32
	v_pack_b32_f16 v35, v63, v35
	ds_write2_b32 v67, v0, v3 offset0:122 offset1:173
	v_pack_b32_f16 v0, v33, v57
	;; [unrolled: 3-line block ×3, first 2 shown]
	ds_write2_b32 v73, v1, v0 offset0:124 offset1:175
	v_pack_b32_f16 v0, v2, v34
	ds_write_b32 v99, v0 offset:6528
	s_waitcnt lgkmcnt(0)
	; wave barrier
	s_waitcnt lgkmcnt(0)
	ds_read2_b32 v[0:1], v99 offset1:99
	s_mov_b32 s12, 0x87d568ce
	s_mov_b32 s13, 0x3f437851
	v_mad_u64_u32 v[3:4], s[0:1], s10, v209, 0
	s_waitcnt lgkmcnt(0)
	v_lshrrev_b32_e32 v9, 16, v0
	v_mul_f16_sdwa v2, v117, v9 dst_sel:DWORD dst_unused:UNUSED_PAD src0_sel:WORD_1 src1_sel:DWORD
	v_fma_f16 v2, v117, v0, v2
	v_cvt_f32_f16_e32 v2, v2
	s_movk_i32 s19, 0x1ff
	s_movk_i32 s16, 0xffe
	v_mul_f16_sdwa v0, v117, v0 dst_sel:DWORD dst_unused:UNUSED_PAD src0_sel:WORD_1 src1_sel:DWORD
	v_cvt_f64_f32_e32 v[5:6], v2
	v_mov_b32_e32 v2, v4
	v_mad_u64_u32 v[7:8], s[0:1], s11, v209, v[2:3]
	v_mul_f64 v[5:6], v[5:6], s[12:13]
	v_fma_f16 v0, v117, v9, -v0
	v_mov_b32_e32 v4, v7
	v_cvt_f32_f16_e32 v0, v0
	s_movk_i32 s17, 0x40f
	s_mov_b32 s18, 0x8000
	v_lshlrev_b64 v[3:4], 2, v[3:4]
	s_movk_i32 s20, 0x1000
	v_and_or_b32 v2, v6, s19, v5
	v_cmp_ne_u32_e64 s[0:1], 0, v2
	v_cndmask_b32_e64 v2, 0, 1, s[0:1]
	v_lshrrev_b32_e32 v5, 8, v6
	v_bfe_u32 v7, v6, 20, 11
	v_and_or_b32 v5, v5, s16, v2
	v_sub_u32_e32 v8, 0x3f1, v7
	v_or_b32_e32 v2, 0x1000, v5
	v_med3_i32 v8, v8, 0, 13
	v_lshrrev_b32_e32 v10, v8, v2
	v_lshlrev_b32_e32 v8, v8, v10
	v_cmp_ne_u32_e64 s[0:1], v8, v2
	v_cndmask_b32_e64 v2, 0, 1, s[0:1]
	v_or_b32_e32 v2, v10, v2
	v_add_u32_e32 v10, 0xfffffc10, v7
	v_lshl_or_b32 v7, v10, 12, v5
	v_cmp_gt_i32_e64 s[0:1], 1, v10
	v_cndmask_b32_e64 v2, v7, v2, s[0:1]
	v_and_b32_e32 v7, 7, v2
	v_cmp_lt_i32_e64 s[0:1], 5, v7
	v_cmp_eq_u32_e64 s[2:3], 3, v7
	v_cvt_f64_f32_e32 v[7:8], v0
	v_lshrrev_b32_e32 v2, 2, v2
	s_or_b64 s[0:1], s[2:3], s[0:1]
	v_addc_co_u32_e64 v9, s[0:1], 0, v2, s[0:1]
	v_mul_f64 v[7:8], v[7:8], s[12:13]
	v_mov_b32_e32 v2, 0x7c00
	v_cmp_gt_i32_e64 s[0:1], 31, v10
	v_cndmask_b32_e64 v0, v2, v9, s[0:1]
	v_cmp_ne_u32_e64 s[0:1], 0, v5
	v_cndmask_b32_e64 v5, 0, 1, s[0:1]
	v_lshl_or_b32 v5, v5, 9, v2
	v_cmp_eq_u32_e64 s[0:1], s17, v10
	v_cndmask_b32_e64 v0, v0, v5, s[0:1]
	v_lshrrev_b32_e32 v5, 16, v6
	v_and_or_b32 v9, v5, s18, v0
	v_and_or_b32 v0, v8, s19, v7
	v_cmp_ne_u32_e64 s[0:1], 0, v0
	v_cndmask_b32_e64 v0, 0, 1, s[0:1]
	v_lshrrev_b32_e32 v5, 8, v8
	v_bfe_u32 v6, v8, 20, 11
	v_and_or_b32 v0, v5, s16, v0
	v_sub_u32_e32 v7, 0x3f1, v6
	v_or_b32_e32 v5, 0x1000, v0
	v_med3_i32 v7, v7, 0, 13
	v_lshrrev_b32_e32 v10, v7, v5
	v_lshlrev_b32_e32 v7, v7, v10
	v_cmp_ne_u32_e64 s[0:1], v7, v5
	v_cndmask_b32_e64 v5, 0, 1, s[0:1]
	v_add_u32_e32 v7, 0xfffffc10, v6
	v_or_b32_e32 v5, v10, v5
	v_lshl_or_b32 v6, v7, 12, v0
	v_cmp_gt_i32_e64 s[0:1], 1, v7
	v_cndmask_b32_e64 v5, v6, v5, s[0:1]
	v_and_b32_e32 v6, 7, v5
	v_cmp_lt_i32_e64 s[0:1], 5, v6
	v_cmp_eq_u32_e64 s[2:3], 3, v6
	v_lshrrev_b32_e32 v5, 2, v5
	s_or_b64 s[0:1], s[2:3], s[0:1]
	v_addc_co_u32_e64 v5, s[0:1], 0, v5, s[0:1]
	v_cmp_gt_i32_e64 s[0:1], 31, v7
	v_cndmask_b32_e64 v10, v2, v5, s[0:1]
	v_cmp_ne_u32_e64 s[0:1], 0, v0
	v_cndmask_b32_e64 v0, 0, 1, s[0:1]
	v_mad_u64_u32 v[5:6], s[0:1], s8, v100, 0
	v_lshl_or_b32 v0, v0, 9, v2
	v_cmp_eq_u32_e64 s[0:1], s17, v7
	v_cndmask_b32_e64 v10, v10, v0, s[0:1]
	v_mov_b32_e32 v0, v6
	v_mad_u64_u32 v[6:7], s[0:1], s9, v100, v[0:1]
	v_lshrrev_b32_e32 v0, 16, v1
	v_mul_f16_sdwa v7, v116, v0 dst_sel:DWORD dst_unused:UNUSED_PAD src0_sel:WORD_1 src1_sel:DWORD
	v_fma_f16 v7, v116, v1, v7
	v_cvt_f32_f16_e32 v7, v7
	v_lshrrev_b32_e32 v8, 16, v8
	v_and_or_b32 v10, v8, s18, v10
	v_and_b32_e32 v9, 0xffff, v9
	v_cvt_f64_f32_e32 v[7:8], v7
	v_lshl_or_b32 v9, v10, 16, v9
	v_mov_b32_e32 v10, s15
	v_add_co_u32_e64 v3, s[0:1], s14, v3
	v_mul_f64 v[7:8], v[7:8], s[12:13]
	v_lshlrev_b64 v[5:6], 2, v[5:6]
	v_addc_co_u32_e64 v4, s[0:1], v10, v4, s[0:1]
	v_add_co_u32_e64 v5, s[0:1], v3, v5
	v_addc_co_u32_e64 v6, s[0:1], v4, v6, s[0:1]
	v_and_or_b32 v7, v8, s19, v7
	v_mul_f16_sdwa v1, v116, v1 dst_sel:DWORD dst_unused:UNUSED_PAD src0_sel:WORD_1 src1_sel:DWORD
	v_cmp_ne_u32_e64 s[0:1], 0, v7
	v_fma_f16 v0, v116, v0, -v1
	global_store_dword v[5:6], v9, off
	v_cndmask_b32_e64 v7, 0, 1, s[0:1]
	v_lshrrev_b32_e32 v9, 8, v8
	v_bfe_u32 v10, v8, 20, 11
	v_cvt_f32_f16_e32 v0, v0
	v_and_or_b32 v7, v9, s16, v7
	v_sub_u32_e32 v11, 0x3f1, v10
	v_or_b32_e32 v9, 0x1000, v7
	v_med3_i32 v11, v11, 0, 13
	v_lshrrev_b32_e32 v12, v11, v9
	v_lshlrev_b32_e32 v11, v11, v12
	v_cvt_f64_f32_e32 v[0:1], v0
	v_cmp_ne_u32_e64 s[0:1], v11, v9
	v_cndmask_b32_e64 v9, 0, 1, s[0:1]
	v_add_u32_e32 v10, 0xfffffc10, v10
	v_or_b32_e32 v9, v12, v9
	v_lshl_or_b32 v11, v10, 12, v7
	v_cmp_gt_i32_e64 s[0:1], 1, v10
	v_cndmask_b32_e64 v9, v11, v9, s[0:1]
	v_mul_f64 v[0:1], v[0:1], s[12:13]
	v_and_b32_e32 v11, 7, v9
	v_cmp_lt_i32_e64 s[0:1], 5, v11
	v_cmp_eq_u32_e64 s[2:3], 3, v11
	v_lshrrev_b32_e32 v9, 2, v9
	s_or_b64 s[0:1], s[2:3], s[0:1]
	v_addc_co_u32_e64 v9, s[0:1], 0, v9, s[0:1]
	v_cmp_gt_i32_e64 s[0:1], 31, v10
	v_cndmask_b32_e64 v9, v2, v9, s[0:1]
	v_cmp_ne_u32_e64 s[0:1], 0, v7
	v_cndmask_b32_e64 v7, 0, 1, s[0:1]
	v_lshl_or_b32 v7, v7, 9, v2
	v_cmp_eq_u32_e64 s[0:1], s17, v10
	v_and_or_b32 v0, v1, s19, v0
	v_cndmask_b32_e64 v7, v9, v7, s[0:1]
	v_lshrrev_b32_e32 v8, 16, v8
	v_cmp_ne_u32_e64 s[0:1], 0, v0
	v_and_or_b32 v10, v8, s18, v7
	v_cndmask_b32_e64 v0, 0, 1, s[0:1]
	v_lshrrev_b32_e32 v7, 8, v1
	v_bfe_u32 v8, v1, 20, 11
	v_and_or_b32 v0, v7, s16, v0
	v_sub_u32_e32 v9, 0x3f1, v8
	v_or_b32_e32 v7, 0x1000, v0
	v_med3_i32 v9, v9, 0, 13
	v_lshrrev_b32_e32 v11, v9, v7
	v_lshlrev_b32_e32 v9, v9, v11
	v_cmp_ne_u32_e64 s[0:1], v9, v7
	v_cndmask_b32_e64 v7, 0, 1, s[0:1]
	v_or_b32_e32 v7, v11, v7
	v_add_u32_e32 v11, 0xfffffc10, v8
	v_lshl_or_b32 v8, v11, 12, v0
	v_cmp_gt_i32_e64 s[0:1], 1, v11
	v_cndmask_b32_e64 v7, v8, v7, s[0:1]
	v_and_b32_e32 v8, 7, v7
	v_cmp_lt_i32_e64 s[0:1], 5, v8
	v_cmp_eq_u32_e64 s[2:3], 3, v8
	v_lshrrev_b32_e32 v7, 2, v7
	s_or_b64 s[0:1], s[2:3], s[0:1]
	v_addc_co_u32_e64 v7, s[0:1], 0, v7, s[0:1]
	v_cmp_gt_i32_e64 s[0:1], 31, v11
	v_cndmask_b32_e64 v12, v2, v7, s[0:1]
	v_add_u32_e32 v7, 0x200, v99
	ds_read2_b32 v[8:9], v7 offset0:70 offset1:169
	v_cmp_ne_u32_e64 s[0:1], 0, v0
	v_cndmask_b32_e64 v0, 0, 1, s[0:1]
	v_lshl_or_b32 v0, v0, 9, v2
	v_cmp_eq_u32_e64 s[0:1], s17, v11
	v_cndmask_b32_e64 v0, v12, v0, s[0:1]
	v_lshrrev_b32_e32 v1, 16, v1
	s_waitcnt lgkmcnt(0)
	v_lshrrev_b32_e32 v12, 16, v8
	v_and_or_b32 v11, v1, s18, v0
	v_mul_f16_sdwa v0, v115, v12 dst_sel:DWORD dst_unused:UNUSED_PAD src0_sel:WORD_1 src1_sel:DWORD
	v_fma_f16 v0, v115, v8, v0
	v_cvt_f32_f16_e32 v0, v0
	v_and_b32_e32 v10, 0xffff, v10
	v_lshl_or_b32 v13, v11, 16, v10
	s_mul_i32 s0, s9, 0x63
	v_cvt_f64_f32_e32 v[0:1], v0
	s_mul_hi_u32 s1, s8, 0x63
	s_add_i32 s1, s1, s0
	s_mul_i32 s0, s8, 0x63
	v_mul_f64 v[10:11], v[0:1], s[12:13]
	s_lshl_b64 s[10:11], s[0:1], 2
	v_mov_b32_e32 v1, s11
	v_add_co_u32_e64 v5, s[0:1], s10, v5
	v_addc_co_u32_e64 v6, s[0:1], v6, v1, s[0:1]
	global_store_dword v[5:6], v13, off
	v_and_or_b32 v0, v11, s19, v10
	v_cmp_ne_u32_e64 s[0:1], 0, v0
	v_cndmask_b32_e64 v0, 0, 1, s[0:1]
	v_lshrrev_b32_e32 v10, 8, v11
	v_bfe_u32 v13, v11, 20, 11
	v_and_or_b32 v0, v10, s16, v0
	v_sub_u32_e32 v14, 0x3f1, v13
	v_or_b32_e32 v10, 0x1000, v0
	v_med3_i32 v14, v14, 0, 13
	v_lshrrev_b32_e32 v15, v14, v10
	v_lshlrev_b32_e32 v14, v14, v15
	v_mul_f16_sdwa v8, v115, v8 dst_sel:DWORD dst_unused:UNUSED_PAD src0_sel:WORD_1 src1_sel:DWORD
	v_cmp_ne_u32_e64 s[0:1], v14, v10
	v_fma_f16 v8, v115, v12, -v8
	v_cndmask_b32_e64 v10, 0, 1, s[0:1]
	v_add_u32_e32 v14, 0xfffffc10, v13
	v_cvt_f32_f16_e32 v8, v8
	v_or_b32_e32 v10, v15, v10
	v_lshl_or_b32 v13, v14, 12, v0
	v_cmp_gt_i32_e64 s[0:1], 1, v14
	v_cndmask_b32_e64 v10, v13, v10, s[0:1]
	v_and_b32_e32 v13, 7, v10
	v_cmp_lt_i32_e64 s[0:1], 5, v13
	v_cmp_eq_u32_e64 s[2:3], 3, v13
	v_cvt_f64_f32_e32 v[12:13], v8
	v_lshrrev_b32_e32 v10, 2, v10
	s_or_b64 s[0:1], s[2:3], s[0:1]
	v_addc_co_u32_e64 v8, s[0:1], 0, v10, s[0:1]
	v_mul_f64 v[12:13], v[12:13], s[12:13]
	v_cmp_gt_i32_e64 s[0:1], 31, v14
	v_cndmask_b32_e64 v8, v2, v8, s[0:1]
	v_cmp_ne_u32_e64 s[0:1], 0, v0
	v_cndmask_b32_e64 v0, 0, 1, s[0:1]
	v_lshl_or_b32 v0, v0, 9, v2
	v_cmp_eq_u32_e64 s[0:1], s17, v14
	v_cndmask_b32_e64 v0, v8, v0, s[0:1]
	v_lshrrev_b32_e32 v8, 16, v11
	v_and_or_b32 v0, v8, s18, v0
	v_and_or_b32 v8, v13, s19, v12
	v_cmp_ne_u32_e64 s[0:1], 0, v8
	v_cndmask_b32_e64 v8, 0, 1, s[0:1]
	v_lshrrev_b32_e32 v10, 8, v13
	v_bfe_u32 v11, v13, 20, 11
	v_and_or_b32 v8, v10, s16, v8
	v_sub_u32_e32 v12, 0x3f1, v11
	v_or_b32_e32 v10, 0x1000, v8
	v_med3_i32 v12, v12, 0, 13
	v_lshrrev_b32_e32 v14, v12, v10
	v_lshlrev_b32_e32 v12, v12, v14
	v_cmp_ne_u32_e64 s[0:1], v12, v10
	v_cndmask_b32_e64 v10, 0, 1, s[0:1]
	v_add_u32_e32 v12, 0xfffffc10, v11
	v_or_b32_e32 v10, v14, v10
	v_lshl_or_b32 v11, v12, 12, v8
	v_cmp_gt_i32_e64 s[0:1], 1, v12
	v_cndmask_b32_e64 v10, v11, v10, s[0:1]
	v_and_b32_e32 v11, 7, v10
	v_cmp_lt_i32_e64 s[0:1], 5, v11
	v_cmp_eq_u32_e64 s[2:3], 3, v11
	v_lshrrev_b32_e32 v10, 2, v10
	s_or_b64 s[0:1], s[2:3], s[0:1]
	v_addc_co_u32_e64 v10, s[0:1], 0, v10, s[0:1]
	v_cmp_gt_i32_e64 s[0:1], 31, v12
	v_lshrrev_b32_e32 v15, 16, v9
	v_cndmask_b32_e64 v14, v2, v10, s[0:1]
	v_mul_f16_sdwa v10, v114, v15 dst_sel:DWORD dst_unused:UNUSED_PAD src0_sel:WORD_1 src1_sel:DWORD
	v_fma_f16 v10, v114, v9, v10
	v_cvt_f32_f16_e32 v10, v10
	v_cmp_ne_u32_e64 s[0:1], 0, v8
	v_cndmask_b32_e64 v8, 0, 1, s[0:1]
	v_lshl_or_b32 v8, v8, 9, v2
	v_cvt_f64_f32_e32 v[10:11], v10
	v_cmp_eq_u32_e64 s[0:1], s17, v12
	v_cndmask_b32_e64 v8, v14, v8, s[0:1]
	v_lshrrev_b32_e32 v12, 16, v13
	v_mul_f64 v[10:11], v[10:11], s[12:13]
	v_and_or_b32 v8, v12, s18, v8
	v_and_b32_e32 v0, 0xffff, v0
	v_add_co_u32_e64 v5, s[0:1], s10, v5
	v_lshl_or_b32 v0, v8, 16, v0
	v_addc_co_u32_e64 v6, s[0:1], v6, v1, s[0:1]
	global_store_dword v[5:6], v0, off
	v_and_or_b32 v0, v11, s19, v10
	v_cmp_ne_u32_e64 s[0:1], 0, v0
	v_cndmask_b32_e64 v0, 0, 1, s[0:1]
	v_lshrrev_b32_e32 v8, 8, v11
	v_bfe_u32 v10, v11, 20, 11
	v_and_or_b32 v0, v8, s16, v0
	v_sub_u32_e32 v12, 0x3f1, v10
	v_or_b32_e32 v8, 0x1000, v0
	v_med3_i32 v12, v12, 0, 13
	v_lshrrev_b32_e32 v13, v12, v8
	v_lshlrev_b32_e32 v12, v12, v13
	v_mul_f16_sdwa v9, v114, v9 dst_sel:DWORD dst_unused:UNUSED_PAD src0_sel:WORD_1 src1_sel:DWORD
	v_cmp_ne_u32_e64 s[0:1], v12, v8
	v_fma_f16 v9, v114, v15, -v9
	v_cndmask_b32_e64 v8, 0, 1, s[0:1]
	v_add_u32_e32 v10, 0xfffffc10, v10
	v_cvt_f32_f16_e32 v9, v9
	v_or_b32_e32 v8, v13, v8
	v_lshl_or_b32 v12, v10, 12, v0
	v_cmp_gt_i32_e64 s[0:1], 1, v10
	v_cndmask_b32_e64 v8, v12, v8, s[0:1]
	v_and_b32_e32 v12, 7, v8
	v_cmp_lt_i32_e64 s[0:1], 5, v12
	v_cmp_eq_u32_e64 s[2:3], 3, v12
	v_lshrrev_b32_e32 v12, 2, v8
	v_cvt_f64_f32_e32 v[8:9], v9
	s_or_b64 s[0:1], s[2:3], s[0:1]
	v_addc_co_u32_e64 v12, s[0:1], 0, v12, s[0:1]
	v_mul_f64 v[8:9], v[8:9], s[12:13]
	v_cmp_gt_i32_e64 s[0:1], 31, v10
	v_cndmask_b32_e64 v12, v2, v12, s[0:1]
	v_cmp_ne_u32_e64 s[0:1], 0, v0
	v_cndmask_b32_e64 v0, 0, 1, s[0:1]
	v_lshl_or_b32 v0, v0, 9, v2
	v_cmp_eq_u32_e64 s[0:1], s17, v10
	v_cndmask_b32_e64 v0, v12, v0, s[0:1]
	v_and_or_b32 v8, v9, s19, v8
	v_lshrrev_b32_e32 v10, 16, v11
	v_cmp_ne_u32_e64 s[0:1], 0, v8
	v_and_or_b32 v0, v10, s18, v0
	v_cndmask_b32_e64 v8, 0, 1, s[0:1]
	v_lshrrev_b32_e32 v10, 8, v9
	v_bfe_u32 v11, v9, 20, 11
	v_and_or_b32 v8, v10, s16, v8
	v_sub_u32_e32 v12, 0x3f1, v11
	v_or_b32_e32 v10, 0x1000, v8
	v_med3_i32 v12, v12, 0, 13
	v_lshrrev_b32_e32 v13, v12, v10
	v_lshlrev_b32_e32 v12, v12, v13
	v_cmp_ne_u32_e64 s[0:1], v12, v10
	v_cndmask_b32_e64 v10, 0, 1, s[0:1]
	v_add_u32_e32 v14, 0xfffffc10, v11
	v_or_b32_e32 v10, v13, v10
	v_lshl_or_b32 v11, v14, 12, v8
	v_cmp_gt_i32_e64 s[0:1], 1, v14
	v_cndmask_b32_e64 v10, v11, v10, s[0:1]
	v_and_b32_e32 v11, 7, v10
	v_cmp_lt_i32_e64 s[0:1], 5, v11
	v_cmp_eq_u32_e64 s[2:3], 3, v11
	v_lshrrev_b32_e32 v12, 2, v10
	ds_read2_b32 v[10:11], v74 offset0:140 offset1:239
	s_or_b64 s[0:1], s[2:3], s[0:1]
	v_addc_co_u32_e64 v12, s[0:1], 0, v12, s[0:1]
	v_cmp_gt_i32_e64 s[0:1], 31, v14
	s_waitcnt lgkmcnt(0)
	v_lshrrev_b32_e32 v18, 16, v10
	v_cndmask_b32_e64 v15, v2, v12, s[0:1]
	v_mul_f16_sdwa v12, v113, v18 dst_sel:DWORD dst_unused:UNUSED_PAD src0_sel:WORD_1 src1_sel:DWORD
	v_fma_f16 v12, v113, v10, v12
	v_cvt_f32_f16_e32 v12, v12
	v_cmp_ne_u32_e64 s[0:1], 0, v8
	v_cndmask_b32_e64 v8, 0, 1, s[0:1]
	v_lshl_or_b32 v8, v8, 9, v2
	v_cvt_f64_f32_e32 v[12:13], v12
	v_cmp_eq_u32_e64 s[0:1], s17, v14
	v_cndmask_b32_e64 v8, v15, v8, s[0:1]
	v_lshrrev_b32_e32 v9, 16, v9
	v_and_or_b32 v14, v9, s18, v8
	v_mul_f64 v[8:9], v[12:13], s[12:13]
	v_and_b32_e32 v0, 0xffff, v0
	v_add_co_u32_e64 v5, s[0:1], s10, v5
	v_lshl_or_b32 v0, v14, 16, v0
	v_addc_co_u32_e64 v6, s[0:1], v6, v1, s[0:1]
	global_store_dword v[5:6], v0, off
	v_and_or_b32 v0, v9, s19, v8
	v_cmp_ne_u32_e64 s[0:1], 0, v0
	v_cndmask_b32_e64 v0, 0, 1, s[0:1]
	v_lshrrev_b32_e32 v8, 8, v9
	v_bfe_u32 v12, v9, 20, 11
	v_and_or_b32 v0, v8, s16, v0
	v_sub_u32_e32 v13, 0x3f1, v12
	v_or_b32_e32 v8, 0x1000, v0
	v_med3_i32 v13, v13, 0, 13
	v_lshrrev_b32_e32 v14, v13, v8
	v_lshlrev_b32_e32 v13, v13, v14
	v_cmp_ne_u32_e64 s[0:1], v13, v8
	v_mul_f16_sdwa v10, v113, v10 dst_sel:DWORD dst_unused:UNUSED_PAD src0_sel:WORD_1 src1_sel:DWORD
	v_cndmask_b32_e64 v8, 0, 1, s[0:1]
	v_fma_f16 v10, v113, v18, -v10
	v_or_b32_e32 v8, v14, v8
	v_add_u32_e32 v14, 0xfffffc10, v12
	v_cvt_f32_f16_e32 v10, v10
	v_lshl_or_b32 v12, v14, 12, v0
	v_cmp_gt_i32_e64 s[0:1], 1, v14
	v_cndmask_b32_e64 v8, v12, v8, s[0:1]
	v_and_b32_e32 v12, 7, v8
	v_cmp_lt_i32_e64 s[0:1], 5, v12
	v_cmp_eq_u32_e64 s[2:3], 3, v12
	v_cvt_f64_f32_e32 v[12:13], v10
	v_lshrrev_b32_e32 v8, 2, v8
	s_or_b64 s[0:1], s[2:3], s[0:1]
	v_addc_co_u32_e64 v8, s[0:1], 0, v8, s[0:1]
	v_mul_f64 v[12:13], v[12:13], s[12:13]
	v_cmp_gt_i32_e64 s[0:1], 31, v14
	v_cndmask_b32_e64 v8, v2, v8, s[0:1]
	v_cmp_ne_u32_e64 s[0:1], 0, v0
	v_cndmask_b32_e64 v0, 0, 1, s[0:1]
	v_lshl_or_b32 v0, v0, 9, v2
	v_cmp_eq_u32_e64 s[0:1], s17, v14
	v_cndmask_b32_e64 v0, v8, v0, s[0:1]
	v_lshrrev_b32_e32 v8, 16, v9
	v_and_or_b32 v0, v8, s18, v0
	v_and_or_b32 v8, v13, s19, v12
	v_cmp_ne_u32_e64 s[0:1], 0, v8
	v_cndmask_b32_e64 v8, 0, 1, s[0:1]
	v_lshrrev_b32_e32 v9, 8, v13
	v_bfe_u32 v10, v13, 20, 11
	v_and_or_b32 v8, v9, s16, v8
	v_sub_u32_e32 v12, 0x3f1, v10
	v_or_b32_e32 v9, 0x1000, v8
	v_med3_i32 v12, v12, 0, 13
	v_lshrrev_b32_e32 v14, v12, v9
	v_lshlrev_b32_e32 v12, v12, v14
	v_cmp_ne_u32_e64 s[0:1], v12, v9
	v_cndmask_b32_e64 v9, 0, 1, s[0:1]
	v_add_u32_e32 v10, 0xfffffc10, v10
	v_or_b32_e32 v9, v14, v9
	v_lshl_or_b32 v12, v10, 12, v8
	v_cmp_gt_i32_e64 s[0:1], 1, v10
	v_cndmask_b32_e64 v9, v12, v9, s[0:1]
	v_and_b32_e32 v12, 7, v9
	v_cmp_lt_i32_e64 s[0:1], 5, v12
	v_cmp_eq_u32_e64 s[2:3], 3, v12
	v_lshrrev_b32_e32 v9, 2, v9
	s_or_b64 s[0:1], s[2:3], s[0:1]
	v_addc_co_u32_e64 v9, s[0:1], 0, v9, s[0:1]
	v_cmp_gt_i32_e64 s[0:1], 31, v10
	v_lshrrev_b32_e32 v14, 16, v11
	v_cndmask_b32_e64 v12, v2, v9, s[0:1]
	v_mul_f16_sdwa v9, v112, v14 dst_sel:DWORD dst_unused:UNUSED_PAD src0_sel:WORD_1 src1_sel:DWORD
	v_fma_f16 v9, v112, v11, v9
	v_cvt_f32_f16_e32 v9, v9
	v_cmp_ne_u32_e64 s[0:1], 0, v8
	v_cndmask_b32_e64 v8, 0, 1, s[0:1]
	v_lshl_or_b32 v15, v8, 9, v2
	v_cvt_f64_f32_e32 v[8:9], v9
	v_cmp_eq_u32_e64 s[0:1], s17, v10
	v_cndmask_b32_e64 v10, v12, v15, s[0:1]
	v_lshrrev_b32_e32 v12, 16, v13
	v_mul_f64 v[8:9], v[8:9], s[12:13]
	v_and_or_b32 v10, v12, s18, v10
	v_and_b32_e32 v0, 0xffff, v0
	v_add_co_u32_e64 v5, s[0:1], s10, v5
	v_lshl_or_b32 v0, v10, 16, v0
	v_addc_co_u32_e64 v6, s[0:1], v6, v1, s[0:1]
	global_store_dword v[5:6], v0, off
	v_and_or_b32 v0, v9, s19, v8
	v_cmp_ne_u32_e64 s[0:1], 0, v0
	v_cndmask_b32_e64 v0, 0, 1, s[0:1]
	v_lshrrev_b32_e32 v8, 8, v9
	v_bfe_u32 v10, v9, 20, 11
	v_and_or_b32 v0, v8, s16, v0
	v_sub_u32_e32 v12, 0x3f1, v10
	v_or_b32_e32 v8, 0x1000, v0
	v_med3_i32 v12, v12, 0, 13
	v_lshrrev_b32_e32 v13, v12, v8
	v_lshlrev_b32_e32 v12, v12, v13
	v_mul_f16_sdwa v11, v112, v11 dst_sel:DWORD dst_unused:UNUSED_PAD src0_sel:WORD_1 src1_sel:DWORD
	v_cmp_ne_u32_e64 s[0:1], v12, v8
	v_fma_f16 v11, v112, v14, -v11
	v_cndmask_b32_e64 v8, 0, 1, s[0:1]
	v_add_u32_e32 v12, 0xfffffc10, v10
	v_cvt_f32_f16_e32 v11, v11
	v_or_b32_e32 v8, v13, v8
	v_lshl_or_b32 v10, v12, 12, v0
	v_cmp_gt_i32_e64 s[0:1], 1, v12
	v_cndmask_b32_e64 v8, v10, v8, s[0:1]
	v_and_b32_e32 v10, 7, v8
	v_cmp_lt_i32_e64 s[0:1], 5, v10
	v_cmp_eq_u32_e64 s[2:3], 3, v10
	v_cvt_f64_f32_e32 v[10:11], v11
	v_lshrrev_b32_e32 v8, 2, v8
	s_or_b64 s[0:1], s[2:3], s[0:1]
	v_addc_co_u32_e64 v8, s[0:1], 0, v8, s[0:1]
	v_mul_f64 v[10:11], v[10:11], s[12:13]
	v_cmp_gt_i32_e64 s[0:1], 31, v12
	v_cndmask_b32_e64 v8, v2, v8, s[0:1]
	v_cmp_ne_u32_e64 s[0:1], 0, v0
	v_cndmask_b32_e64 v0, 0, 1, s[0:1]
	v_lshl_or_b32 v0, v0, 9, v2
	v_cmp_eq_u32_e64 s[0:1], s17, v12
	v_cndmask_b32_e64 v0, v8, v0, s[0:1]
	v_lshrrev_b32_e32 v8, 16, v9
	v_and_or_b32 v0, v8, s18, v0
	v_and_or_b32 v8, v11, s19, v10
	v_cmp_ne_u32_e64 s[0:1], 0, v8
	v_cndmask_b32_e64 v8, 0, 1, s[0:1]
	v_lshrrev_b32_e32 v9, 8, v11
	v_and_or_b32 v10, v9, s16, v8
	v_bfe_u32 v9, v11, 20, 11
	v_sub_u32_e32 v12, 0x3f1, v9
	v_or_b32_e32 v8, 0x1000, v10
	v_med3_i32 v12, v12, 0, 13
	v_lshrrev_b32_e32 v13, v12, v8
	v_lshlrev_b32_e32 v12, v12, v13
	v_cmp_ne_u32_e64 s[0:1], v12, v8
	v_cndmask_b32_e64 v8, 0, 1, s[0:1]
	v_add_u32_e32 v14, 0xfffffc10, v9
	v_or_b32_e32 v8, v13, v8
	v_lshl_or_b32 v9, v14, 12, v10
	v_cmp_gt_i32_e64 s[0:1], 1, v14
	v_cndmask_b32_e64 v8, v9, v8, s[0:1]
	v_and_b32_e32 v9, 7, v8
	v_cmp_lt_i32_e64 s[0:1], 5, v9
	v_cmp_eq_u32_e64 s[2:3], 3, v9
	v_lshrrev_b32_e32 v12, 2, v8
	ds_read2_b32 v[8:9], v70 offset0:82 offset1:181
	s_or_b64 s[0:1], s[2:3], s[0:1]
	v_addc_co_u32_e64 v12, s[0:1], 0, v12, s[0:1]
	v_cmp_gt_i32_e64 s[0:1], 31, v14
	s_waitcnt lgkmcnt(0)
	v_lshrrev_b32_e32 v18, 16, v8
	v_cndmask_b32_e64 v15, v2, v12, s[0:1]
	v_mul_f16_sdwa v12, v111, v18 dst_sel:DWORD dst_unused:UNUSED_PAD src0_sel:WORD_1 src1_sel:DWORD
	v_fma_f16 v12, v111, v8, v12
	v_cvt_f32_f16_e32 v12, v12
	v_cmp_ne_u32_e64 s[0:1], 0, v10
	v_cndmask_b32_e64 v10, 0, 1, s[0:1]
	v_lshl_or_b32 v10, v10, 9, v2
	v_cvt_f64_f32_e32 v[12:13], v12
	v_cmp_eq_u32_e64 s[0:1], s17, v14
	v_cndmask_b32_e64 v10, v15, v10, s[0:1]
	v_lshrrev_b32_e32 v11, 16, v11
	v_and_or_b32 v14, v11, s18, v10
	v_mul_f64 v[10:11], v[12:13], s[12:13]
	v_and_b32_e32 v0, 0xffff, v0
	v_add_co_u32_e64 v5, s[0:1], s10, v5
	v_lshl_or_b32 v0, v14, 16, v0
	v_addc_co_u32_e64 v6, s[0:1], v6, v1, s[0:1]
	global_store_dword v[5:6], v0, off
	v_and_or_b32 v0, v11, s19, v10
	v_cmp_ne_u32_e64 s[0:1], 0, v0
	v_cndmask_b32_e64 v0, 0, 1, s[0:1]
	v_lshrrev_b32_e32 v10, 8, v11
	v_bfe_u32 v12, v11, 20, 11
	v_and_or_b32 v0, v10, s16, v0
	v_sub_u32_e32 v13, 0x3f1, v12
	v_or_b32_e32 v10, 0x1000, v0
	v_med3_i32 v13, v13, 0, 13
	v_lshrrev_b32_e32 v14, v13, v10
	v_lshlrev_b32_e32 v13, v13, v14
	v_cmp_ne_u32_e64 s[0:1], v13, v10
	v_mul_f16_sdwa v8, v111, v8 dst_sel:DWORD dst_unused:UNUSED_PAD src0_sel:WORD_1 src1_sel:DWORD
	v_cndmask_b32_e64 v10, 0, 1, s[0:1]
	v_fma_f16 v8, v111, v18, -v8
	v_or_b32_e32 v10, v14, v10
	v_add_u32_e32 v14, 0xfffffc10, v12
	v_cvt_f32_f16_e32 v8, v8
	v_lshl_or_b32 v12, v14, 12, v0
	v_cmp_gt_i32_e64 s[0:1], 1, v14
	v_cndmask_b32_e64 v10, v12, v10, s[0:1]
	v_and_b32_e32 v12, 7, v10
	v_cmp_lt_i32_e64 s[0:1], 5, v12
	v_cmp_eq_u32_e64 s[2:3], 3, v12
	v_cvt_f64_f32_e32 v[12:13], v8
	v_lshrrev_b32_e32 v10, 2, v10
	s_or_b64 s[0:1], s[2:3], s[0:1]
	v_addc_co_u32_e64 v8, s[0:1], 0, v10, s[0:1]
	v_mul_f64 v[12:13], v[12:13], s[12:13]
	v_cmp_gt_i32_e64 s[0:1], 31, v14
	v_cndmask_b32_e64 v8, v2, v8, s[0:1]
	v_cmp_ne_u32_e64 s[0:1], 0, v0
	v_cndmask_b32_e64 v0, 0, 1, s[0:1]
	v_lshl_or_b32 v0, v0, 9, v2
	v_cmp_eq_u32_e64 s[0:1], s17, v14
	v_cndmask_b32_e64 v0, v8, v0, s[0:1]
	v_lshrrev_b32_e32 v8, 16, v11
	v_and_or_b32 v0, v8, s18, v0
	v_and_or_b32 v8, v13, s19, v12
	v_cmp_ne_u32_e64 s[0:1], 0, v8
	v_cndmask_b32_e64 v8, 0, 1, s[0:1]
	v_lshrrev_b32_e32 v10, 8, v13
	v_bfe_u32 v11, v13, 20, 11
	v_and_or_b32 v8, v10, s16, v8
	v_sub_u32_e32 v12, 0x3f1, v11
	v_or_b32_e32 v10, 0x1000, v8
	v_med3_i32 v12, v12, 0, 13
	v_lshrrev_b32_e32 v14, v12, v10
	v_lshlrev_b32_e32 v12, v12, v14
	v_cmp_ne_u32_e64 s[0:1], v12, v10
	v_cndmask_b32_e64 v10, 0, 1, s[0:1]
	v_add_u32_e32 v12, 0xfffffc10, v11
	v_or_b32_e32 v10, v14, v10
	v_lshl_or_b32 v11, v12, 12, v8
	v_cmp_gt_i32_e64 s[0:1], 1, v12
	v_cndmask_b32_e64 v10, v11, v10, s[0:1]
	v_and_b32_e32 v11, 7, v10
	v_cmp_lt_i32_e64 s[0:1], 5, v11
	v_cmp_eq_u32_e64 s[2:3], 3, v11
	v_lshrrev_b32_e32 v10, 2, v10
	s_or_b64 s[0:1], s[2:3], s[0:1]
	v_addc_co_u32_e64 v10, s[0:1], 0, v10, s[0:1]
	v_cmp_gt_i32_e64 s[0:1], 31, v12
	v_lshrrev_b32_e32 v15, 16, v9
	v_cndmask_b32_e64 v14, v2, v10, s[0:1]
	v_mul_f16_sdwa v10, v110, v15 dst_sel:DWORD dst_unused:UNUSED_PAD src0_sel:WORD_1 src1_sel:DWORD
	v_fma_f16 v10, v110, v9, v10
	v_cvt_f32_f16_e32 v10, v10
	v_cmp_ne_u32_e64 s[0:1], 0, v8
	v_cndmask_b32_e64 v8, 0, 1, s[0:1]
	v_lshl_or_b32 v8, v8, 9, v2
	v_cvt_f64_f32_e32 v[10:11], v10
	v_cmp_eq_u32_e64 s[0:1], s17, v12
	v_cndmask_b32_e64 v8, v14, v8, s[0:1]
	v_lshrrev_b32_e32 v12, 16, v13
	v_mul_f64 v[10:11], v[10:11], s[12:13]
	v_and_or_b32 v8, v12, s18, v8
	v_and_b32_e32 v0, 0xffff, v0
	v_add_co_u32_e64 v5, s[0:1], s10, v5
	v_lshl_or_b32 v0, v8, 16, v0
	v_addc_co_u32_e64 v6, s[0:1], v6, v1, s[0:1]
	global_store_dword v[5:6], v0, off
	v_and_or_b32 v0, v11, s19, v10
	v_cmp_ne_u32_e64 s[0:1], 0, v0
	v_cndmask_b32_e64 v0, 0, 1, s[0:1]
	v_lshrrev_b32_e32 v8, 8, v11
	v_bfe_u32 v10, v11, 20, 11
	v_and_or_b32 v0, v8, s16, v0
	v_sub_u32_e32 v12, 0x3f1, v10
	v_or_b32_e32 v8, 0x1000, v0
	v_med3_i32 v12, v12, 0, 13
	v_lshrrev_b32_e32 v13, v12, v8
	v_lshlrev_b32_e32 v12, v12, v13
	v_mul_f16_sdwa v9, v110, v9 dst_sel:DWORD dst_unused:UNUSED_PAD src0_sel:WORD_1 src1_sel:DWORD
	v_cmp_ne_u32_e64 s[0:1], v12, v8
	v_fma_f16 v9, v110, v15, -v9
	v_cndmask_b32_e64 v8, 0, 1, s[0:1]
	v_add_u32_e32 v10, 0xfffffc10, v10
	v_cvt_f32_f16_e32 v9, v9
	v_or_b32_e32 v8, v13, v8
	v_lshl_or_b32 v12, v10, 12, v0
	v_cmp_gt_i32_e64 s[0:1], 1, v10
	v_cndmask_b32_e64 v8, v12, v8, s[0:1]
	v_and_b32_e32 v12, 7, v8
	v_cmp_lt_i32_e64 s[0:1], 5, v12
	v_cmp_eq_u32_e64 s[2:3], 3, v12
	v_lshrrev_b32_e32 v12, 2, v8
	v_cvt_f64_f32_e32 v[8:9], v9
	s_or_b64 s[0:1], s[2:3], s[0:1]
	v_addc_co_u32_e64 v12, s[0:1], 0, v12, s[0:1]
	v_mul_f64 v[8:9], v[8:9], s[12:13]
	v_cmp_gt_i32_e64 s[0:1], 31, v10
	v_cndmask_b32_e64 v12, v2, v12, s[0:1]
	v_cmp_ne_u32_e64 s[0:1], 0, v0
	v_cndmask_b32_e64 v0, 0, 1, s[0:1]
	v_lshl_or_b32 v0, v0, 9, v2
	v_cmp_eq_u32_e64 s[0:1], s17, v10
	v_cndmask_b32_e64 v0, v12, v0, s[0:1]
	v_and_or_b32 v8, v9, s19, v8
	v_lshrrev_b32_e32 v10, 16, v11
	v_cmp_ne_u32_e64 s[0:1], 0, v8
	v_and_or_b32 v0, v10, s18, v0
	v_cndmask_b32_e64 v8, 0, 1, s[0:1]
	v_lshrrev_b32_e32 v10, 8, v9
	v_bfe_u32 v11, v9, 20, 11
	v_and_or_b32 v8, v10, s16, v8
	v_sub_u32_e32 v12, 0x3f1, v11
	v_or_b32_e32 v10, 0x1000, v8
	v_med3_i32 v12, v12, 0, 13
	v_lshrrev_b32_e32 v13, v12, v10
	v_lshlrev_b32_e32 v12, v12, v13
	v_cmp_ne_u32_e64 s[0:1], v12, v10
	v_cndmask_b32_e64 v10, 0, 1, s[0:1]
	v_add_u32_e32 v14, 0xfffffc10, v11
	v_or_b32_e32 v10, v13, v10
	v_lshl_or_b32 v11, v14, 12, v8
	v_cmp_gt_i32_e64 s[0:1], 1, v14
	v_cndmask_b32_e64 v10, v11, v10, s[0:1]
	v_and_b32_e32 v11, 7, v10
	v_cmp_lt_i32_e64 s[0:1], 5, v11
	v_cmp_eq_u32_e64 s[2:3], 3, v11
	v_lshrrev_b32_e32 v12, 2, v10
	ds_read2_b32 v[10:11], v69 offset0:24 offset1:123
	s_or_b64 s[0:1], s[2:3], s[0:1]
	v_addc_co_u32_e64 v12, s[0:1], 0, v12, s[0:1]
	v_cmp_gt_i32_e64 s[0:1], 31, v14
	s_waitcnt lgkmcnt(0)
	v_lshrrev_b32_e32 v18, 16, v10
	v_cndmask_b32_e64 v15, v2, v12, s[0:1]
	v_mul_f16_sdwa v12, v109, v18 dst_sel:DWORD dst_unused:UNUSED_PAD src0_sel:WORD_1 src1_sel:DWORD
	v_fma_f16 v12, v109, v10, v12
	v_cvt_f32_f16_e32 v12, v12
	v_cmp_ne_u32_e64 s[0:1], 0, v8
	v_cndmask_b32_e64 v8, 0, 1, s[0:1]
	v_lshl_or_b32 v8, v8, 9, v2
	v_cvt_f64_f32_e32 v[12:13], v12
	v_cmp_eq_u32_e64 s[0:1], s17, v14
	v_cndmask_b32_e64 v8, v15, v8, s[0:1]
	v_lshrrev_b32_e32 v9, 16, v9
	v_and_or_b32 v14, v9, s18, v8
	v_mul_f64 v[8:9], v[12:13], s[12:13]
	v_and_b32_e32 v0, 0xffff, v0
	v_add_co_u32_e64 v5, s[0:1], s10, v5
	v_lshl_or_b32 v0, v14, 16, v0
	v_addc_co_u32_e64 v6, s[0:1], v6, v1, s[0:1]
	global_store_dword v[5:6], v0, off
	v_and_or_b32 v0, v9, s19, v8
	v_cmp_ne_u32_e64 s[0:1], 0, v0
	v_cndmask_b32_e64 v0, 0, 1, s[0:1]
	v_lshrrev_b32_e32 v8, 8, v9
	v_bfe_u32 v12, v9, 20, 11
	v_and_or_b32 v0, v8, s16, v0
	v_sub_u32_e32 v13, 0x3f1, v12
	v_or_b32_e32 v8, 0x1000, v0
	v_med3_i32 v13, v13, 0, 13
	v_lshrrev_b32_e32 v14, v13, v8
	v_lshlrev_b32_e32 v13, v13, v14
	v_cmp_ne_u32_e64 s[0:1], v13, v8
	v_mul_f16_sdwa v10, v109, v10 dst_sel:DWORD dst_unused:UNUSED_PAD src0_sel:WORD_1 src1_sel:DWORD
	v_cndmask_b32_e64 v8, 0, 1, s[0:1]
	v_fma_f16 v10, v109, v18, -v10
	v_or_b32_e32 v8, v14, v8
	v_add_u32_e32 v14, 0xfffffc10, v12
	v_cvt_f32_f16_e32 v10, v10
	v_lshl_or_b32 v12, v14, 12, v0
	v_cmp_gt_i32_e64 s[0:1], 1, v14
	v_cndmask_b32_e64 v8, v12, v8, s[0:1]
	v_and_b32_e32 v12, 7, v8
	v_cmp_lt_i32_e64 s[0:1], 5, v12
	v_cmp_eq_u32_e64 s[2:3], 3, v12
	v_cvt_f64_f32_e32 v[12:13], v10
	v_lshrrev_b32_e32 v8, 2, v8
	s_or_b64 s[0:1], s[2:3], s[0:1]
	v_addc_co_u32_e64 v8, s[0:1], 0, v8, s[0:1]
	v_mul_f64 v[12:13], v[12:13], s[12:13]
	v_cmp_gt_i32_e64 s[0:1], 31, v14
	v_cndmask_b32_e64 v8, v2, v8, s[0:1]
	v_cmp_ne_u32_e64 s[0:1], 0, v0
	v_cndmask_b32_e64 v0, 0, 1, s[0:1]
	v_lshl_or_b32 v0, v0, 9, v2
	v_cmp_eq_u32_e64 s[0:1], s17, v14
	v_cndmask_b32_e64 v0, v8, v0, s[0:1]
	v_lshrrev_b32_e32 v8, 16, v9
	v_and_or_b32 v0, v8, s18, v0
	v_and_or_b32 v8, v13, s19, v12
	v_cmp_ne_u32_e64 s[0:1], 0, v8
	v_cndmask_b32_e64 v8, 0, 1, s[0:1]
	v_lshrrev_b32_e32 v9, 8, v13
	v_bfe_u32 v10, v13, 20, 11
	v_and_or_b32 v8, v9, s16, v8
	v_sub_u32_e32 v12, 0x3f1, v10
	v_or_b32_e32 v9, 0x1000, v8
	v_med3_i32 v12, v12, 0, 13
	v_lshrrev_b32_e32 v14, v12, v9
	v_lshlrev_b32_e32 v12, v12, v14
	v_cmp_ne_u32_e64 s[0:1], v12, v9
	v_cndmask_b32_e64 v9, 0, 1, s[0:1]
	v_add_u32_e32 v10, 0xfffffc10, v10
	v_or_b32_e32 v9, v14, v9
	v_lshl_or_b32 v12, v10, 12, v8
	v_cmp_gt_i32_e64 s[0:1], 1, v10
	v_cndmask_b32_e64 v9, v12, v9, s[0:1]
	v_and_b32_e32 v12, 7, v9
	v_cmp_lt_i32_e64 s[0:1], 5, v12
	v_cmp_eq_u32_e64 s[2:3], 3, v12
	v_lshrrev_b32_e32 v9, 2, v9
	s_or_b64 s[0:1], s[2:3], s[0:1]
	v_addc_co_u32_e64 v9, s[0:1], 0, v9, s[0:1]
	v_cmp_gt_i32_e64 s[0:1], 31, v10
	v_lshrrev_b32_e32 v14, 16, v11
	v_cndmask_b32_e64 v12, v2, v9, s[0:1]
	v_mul_f16_sdwa v9, v108, v14 dst_sel:DWORD dst_unused:UNUSED_PAD src0_sel:WORD_1 src1_sel:DWORD
	v_fma_f16 v9, v108, v11, v9
	v_cvt_f32_f16_e32 v9, v9
	v_cmp_ne_u32_e64 s[0:1], 0, v8
	v_cndmask_b32_e64 v8, 0, 1, s[0:1]
	v_lshl_or_b32 v15, v8, 9, v2
	v_cvt_f64_f32_e32 v[8:9], v9
	v_cmp_eq_u32_e64 s[0:1], s17, v10
	v_cndmask_b32_e64 v10, v12, v15, s[0:1]
	v_lshrrev_b32_e32 v12, 16, v13
	v_mul_f64 v[8:9], v[8:9], s[12:13]
	v_and_or_b32 v10, v12, s18, v10
	v_and_b32_e32 v0, 0xffff, v0
	v_add_co_u32_e64 v5, s[0:1], s10, v5
	v_lshl_or_b32 v0, v10, 16, v0
	v_addc_co_u32_e64 v6, s[0:1], v6, v1, s[0:1]
	global_store_dword v[5:6], v0, off
	v_and_or_b32 v0, v9, s19, v8
	v_cmp_ne_u32_e64 s[0:1], 0, v0
	v_cndmask_b32_e64 v0, 0, 1, s[0:1]
	v_lshrrev_b32_e32 v8, 8, v9
	v_bfe_u32 v10, v9, 20, 11
	v_and_or_b32 v0, v8, s16, v0
	v_sub_u32_e32 v12, 0x3f1, v10
	v_or_b32_e32 v8, 0x1000, v0
	v_med3_i32 v12, v12, 0, 13
	v_lshrrev_b32_e32 v13, v12, v8
	v_lshlrev_b32_e32 v12, v12, v13
	v_mul_f16_sdwa v11, v108, v11 dst_sel:DWORD dst_unused:UNUSED_PAD src0_sel:WORD_1 src1_sel:DWORD
	v_cmp_ne_u32_e64 s[0:1], v12, v8
	v_fma_f16 v11, v108, v14, -v11
	v_cndmask_b32_e64 v8, 0, 1, s[0:1]
	v_add_u32_e32 v12, 0xfffffc10, v10
	v_cvt_f32_f16_e32 v11, v11
	v_or_b32_e32 v8, v13, v8
	v_lshl_or_b32 v10, v12, 12, v0
	v_cmp_gt_i32_e64 s[0:1], 1, v12
	v_cndmask_b32_e64 v8, v10, v8, s[0:1]
	v_and_b32_e32 v10, 7, v8
	v_cmp_lt_i32_e64 s[0:1], 5, v10
	v_cmp_eq_u32_e64 s[2:3], 3, v10
	v_cvt_f64_f32_e32 v[10:11], v11
	v_lshrrev_b32_e32 v8, 2, v8
	s_or_b64 s[0:1], s[2:3], s[0:1]
	v_addc_co_u32_e64 v8, s[0:1], 0, v8, s[0:1]
	v_mul_f64 v[10:11], v[10:11], s[12:13]
	v_cmp_gt_i32_e64 s[0:1], 31, v12
	v_cndmask_b32_e64 v8, v2, v8, s[0:1]
	v_cmp_ne_u32_e64 s[0:1], 0, v0
	v_cndmask_b32_e64 v0, 0, 1, s[0:1]
	v_lshl_or_b32 v0, v0, 9, v2
	v_cmp_eq_u32_e64 s[0:1], s17, v12
	v_cndmask_b32_e64 v0, v8, v0, s[0:1]
	v_lshrrev_b32_e32 v8, 16, v9
	v_and_or_b32 v0, v8, s18, v0
	v_and_or_b32 v8, v11, s19, v10
	v_cmp_ne_u32_e64 s[0:1], 0, v8
	v_cndmask_b32_e64 v8, 0, 1, s[0:1]
	v_lshrrev_b32_e32 v9, 8, v11
	v_and_or_b32 v10, v9, s16, v8
	v_bfe_u32 v9, v11, 20, 11
	v_sub_u32_e32 v12, 0x3f1, v9
	v_or_b32_e32 v8, 0x1000, v10
	v_med3_i32 v12, v12, 0, 13
	v_lshrrev_b32_e32 v13, v12, v8
	v_lshlrev_b32_e32 v12, v12, v13
	v_cmp_ne_u32_e64 s[0:1], v12, v8
	v_cndmask_b32_e64 v8, 0, 1, s[0:1]
	v_add_u32_e32 v14, 0xfffffc10, v9
	v_or_b32_e32 v8, v13, v8
	v_lshl_or_b32 v9, v14, 12, v10
	v_cmp_gt_i32_e64 s[0:1], 1, v14
	v_cndmask_b32_e64 v8, v9, v8, s[0:1]
	v_and_b32_e32 v9, 7, v8
	v_cmp_lt_i32_e64 s[0:1], 5, v9
	v_cmp_eq_u32_e64 s[2:3], 3, v9
	v_lshrrev_b32_e32 v12, 2, v8
	ds_read2_b32 v[8:9], v73 offset0:94 offset1:193
	s_or_b64 s[0:1], s[2:3], s[0:1]
	v_addc_co_u32_e64 v12, s[0:1], 0, v12, s[0:1]
	v_cmp_gt_i32_e64 s[0:1], 31, v14
	s_waitcnt lgkmcnt(0)
	v_lshrrev_b32_e32 v18, 16, v8
	v_cndmask_b32_e64 v15, v2, v12, s[0:1]
	v_mul_f16_sdwa v12, v107, v18 dst_sel:DWORD dst_unused:UNUSED_PAD src0_sel:WORD_1 src1_sel:DWORD
	v_fma_f16 v12, v107, v8, v12
	v_cvt_f32_f16_e32 v12, v12
	v_cmp_ne_u32_e64 s[0:1], 0, v10
	v_cndmask_b32_e64 v10, 0, 1, s[0:1]
	v_lshl_or_b32 v10, v10, 9, v2
	v_cvt_f64_f32_e32 v[12:13], v12
	v_cmp_eq_u32_e64 s[0:1], s17, v14
	v_cndmask_b32_e64 v10, v15, v10, s[0:1]
	v_lshrrev_b32_e32 v11, 16, v11
	v_and_or_b32 v14, v11, s18, v10
	v_mul_f64 v[10:11], v[12:13], s[12:13]
	v_and_b32_e32 v0, 0xffff, v0
	v_add_co_u32_e64 v5, s[0:1], s10, v5
	v_lshl_or_b32 v0, v14, 16, v0
	v_addc_co_u32_e64 v6, s[0:1], v6, v1, s[0:1]
	global_store_dword v[5:6], v0, off
	v_and_or_b32 v0, v11, s19, v10
	v_cmp_ne_u32_e64 s[0:1], 0, v0
	v_cndmask_b32_e64 v0, 0, 1, s[0:1]
	v_lshrrev_b32_e32 v10, 8, v11
	v_bfe_u32 v12, v11, 20, 11
	v_and_or_b32 v0, v10, s16, v0
	v_sub_u32_e32 v13, 0x3f1, v12
	v_or_b32_e32 v10, 0x1000, v0
	v_med3_i32 v13, v13, 0, 13
	v_lshrrev_b32_e32 v14, v13, v10
	v_lshlrev_b32_e32 v13, v13, v14
	v_cmp_ne_u32_e64 s[0:1], v13, v10
	v_mul_f16_sdwa v8, v107, v8 dst_sel:DWORD dst_unused:UNUSED_PAD src0_sel:WORD_1 src1_sel:DWORD
	v_cndmask_b32_e64 v10, 0, 1, s[0:1]
	v_fma_f16 v8, v107, v18, -v8
	v_or_b32_e32 v10, v14, v10
	v_add_u32_e32 v14, 0xfffffc10, v12
	v_cvt_f32_f16_e32 v8, v8
	v_lshl_or_b32 v12, v14, 12, v0
	v_cmp_gt_i32_e64 s[0:1], 1, v14
	v_cndmask_b32_e64 v10, v12, v10, s[0:1]
	v_and_b32_e32 v12, 7, v10
	v_cmp_lt_i32_e64 s[0:1], 5, v12
	v_cmp_eq_u32_e64 s[2:3], 3, v12
	v_cvt_f64_f32_e32 v[12:13], v8
	v_lshrrev_b32_e32 v10, 2, v10
	s_or_b64 s[0:1], s[2:3], s[0:1]
	v_addc_co_u32_e64 v8, s[0:1], 0, v10, s[0:1]
	v_mul_f64 v[12:13], v[12:13], s[12:13]
	v_cmp_gt_i32_e64 s[0:1], 31, v14
	v_cndmask_b32_e64 v8, v2, v8, s[0:1]
	v_cmp_ne_u32_e64 s[0:1], 0, v0
	v_cndmask_b32_e64 v0, 0, 1, s[0:1]
	v_lshl_or_b32 v0, v0, 9, v2
	v_cmp_eq_u32_e64 s[0:1], s17, v14
	v_cndmask_b32_e64 v0, v8, v0, s[0:1]
	v_lshrrev_b32_e32 v8, 16, v11
	v_and_or_b32 v0, v8, s18, v0
	v_and_or_b32 v8, v13, s19, v12
	v_cmp_ne_u32_e64 s[0:1], 0, v8
	v_cndmask_b32_e64 v8, 0, 1, s[0:1]
	v_lshrrev_b32_e32 v10, 8, v13
	v_bfe_u32 v11, v13, 20, 11
	v_and_or_b32 v8, v10, s16, v8
	v_sub_u32_e32 v12, 0x3f1, v11
	v_or_b32_e32 v10, 0x1000, v8
	v_med3_i32 v12, v12, 0, 13
	v_lshrrev_b32_e32 v14, v12, v10
	v_lshlrev_b32_e32 v12, v12, v14
	v_cmp_ne_u32_e64 s[0:1], v12, v10
	v_cndmask_b32_e64 v10, 0, 1, s[0:1]
	v_add_u32_e32 v12, 0xfffffc10, v11
	v_or_b32_e32 v10, v14, v10
	v_lshl_or_b32 v11, v12, 12, v8
	v_cmp_gt_i32_e64 s[0:1], 1, v12
	v_cndmask_b32_e64 v10, v11, v10, s[0:1]
	v_and_b32_e32 v11, 7, v10
	v_cmp_lt_i32_e64 s[0:1], 5, v11
	v_cmp_eq_u32_e64 s[2:3], 3, v11
	v_lshrrev_b32_e32 v10, 2, v10
	s_or_b64 s[0:1], s[2:3], s[0:1]
	v_addc_co_u32_e64 v10, s[0:1], 0, v10, s[0:1]
	v_cmp_gt_i32_e64 s[0:1], 31, v12
	v_lshrrev_b32_e32 v15, 16, v9
	v_cndmask_b32_e64 v14, v2, v10, s[0:1]
	v_mul_f16_sdwa v10, v106, v15 dst_sel:DWORD dst_unused:UNUSED_PAD src0_sel:WORD_1 src1_sel:DWORD
	v_fma_f16 v10, v106, v9, v10
	v_cvt_f32_f16_e32 v10, v10
	v_cmp_ne_u32_e64 s[0:1], 0, v8
	v_cndmask_b32_e64 v8, 0, 1, s[0:1]
	v_lshl_or_b32 v8, v8, 9, v2
	v_cvt_f64_f32_e32 v[10:11], v10
	v_cmp_eq_u32_e64 s[0:1], s17, v12
	v_cndmask_b32_e64 v8, v14, v8, s[0:1]
	v_lshrrev_b32_e32 v12, 16, v13
	v_mul_f64 v[10:11], v[10:11], s[12:13]
	v_and_or_b32 v8, v12, s18, v8
	v_and_b32_e32 v0, 0xffff, v0
	v_add_co_u32_e64 v12, s[0:1], s10, v5
	v_lshl_or_b32 v0, v8, 16, v0
	v_addc_co_u32_e64 v13, s[0:1], v6, v1, s[0:1]
	global_store_dword v[12:13], v0, off
	v_and_or_b32 v0, v11, s19, v10
	v_cmp_ne_u32_e64 s[0:1], 0, v0
	v_cndmask_b32_e64 v0, 0, 1, s[0:1]
	v_lshrrev_b32_e32 v5, 8, v11
	v_bfe_u32 v6, v11, 20, 11
	v_and_or_b32 v0, v5, s16, v0
	v_sub_u32_e32 v8, 0x3f1, v6
	v_or_b32_e32 v5, 0x1000, v0
	v_med3_i32 v8, v8, 0, 13
	v_lshrrev_b32_e32 v10, v8, v5
	v_lshlrev_b32_e32 v8, v8, v10
	v_mul_f16_sdwa v9, v106, v9 dst_sel:DWORD dst_unused:UNUSED_PAD src0_sel:WORD_1 src1_sel:DWORD
	v_cmp_ne_u32_e64 s[0:1], v8, v5
	v_fma_f16 v9, v106, v15, -v9
	v_cndmask_b32_e64 v5, 0, 1, s[0:1]
	v_add_u32_e32 v8, 0xfffffc10, v6
	v_cvt_f32_f16_e32 v9, v9
	v_or_b32_e32 v5, v10, v5
	v_lshl_or_b32 v6, v8, 12, v0
	v_cmp_gt_i32_e64 s[0:1], 1, v8
	v_cndmask_b32_e64 v5, v6, v5, s[0:1]
	v_and_b32_e32 v6, 7, v5
	v_cmp_lt_i32_e64 s[0:1], 5, v6
	v_cmp_eq_u32_e64 s[2:3], 3, v6
	v_lshrrev_b32_e32 v10, 2, v5
	v_cvt_f64_f32_e32 v[5:6], v9
	s_or_b64 s[0:1], s[2:3], s[0:1]
	v_addc_co_u32_e64 v9, s[0:1], 0, v10, s[0:1]
	v_mul_f64 v[5:6], v[5:6], s[12:13]
	v_cmp_gt_i32_e64 s[0:1], 31, v8
	v_cndmask_b32_e64 v9, v2, v9, s[0:1]
	v_cmp_ne_u32_e64 s[0:1], 0, v0
	v_cndmask_b32_e64 v0, 0, 1, s[0:1]
	v_lshl_or_b32 v0, v0, 9, v2
	v_cmp_eq_u32_e64 s[0:1], s17, v8
	v_cndmask_b32_e64 v0, v9, v0, s[0:1]
	v_and_or_b32 v5, v6, s19, v5
	v_lshrrev_b32_e32 v8, 16, v11
	v_cmp_ne_u32_e64 s[0:1], 0, v5
	v_and_or_b32 v0, v8, s18, v0
	v_cndmask_b32_e64 v5, 0, 1, s[0:1]
	v_lshrrev_b32_e32 v8, 8, v6
	v_and_or_b32 v10, v8, s16, v5
	v_bfe_u32 v8, v6, 20, 11
	v_sub_u32_e32 v9, 0x3f1, v8
	v_or_b32_e32 v5, 0x1000, v10
	v_med3_i32 v9, v9, 0, 13
	v_lshrrev_b32_e32 v11, v9, v5
	v_lshlrev_b32_e32 v9, v9, v11
	v_cmp_ne_u32_e64 s[0:1], v9, v5
	v_cndmask_b32_e64 v5, 0, 1, s[0:1]
	v_add_u32_e32 v14, 0xfffffc10, v8
	v_or_b32_e32 v5, v11, v5
	v_lshl_or_b32 v8, v14, 12, v10
	v_cmp_gt_i32_e64 s[0:1], 1, v14
	v_cndmask_b32_e64 v5, v8, v5, s[0:1]
	v_and_b32_e32 v8, 7, v5
	v_lshrrev_b32_e32 v11, 2, v5
	v_add_u32_e32 v5, 0x1200, v99
	v_cmp_lt_i32_e64 s[0:1], 5, v8
	v_cmp_eq_u32_e64 s[2:3], 3, v8
	ds_read2_b32 v[8:9], v5 offset0:36 offset1:135
	s_or_b64 s[0:1], s[2:3], s[0:1]
	v_addc_co_u32_e64 v11, s[0:1], 0, v11, s[0:1]
	v_cmp_gt_i32_e64 s[0:1], 31, v14
	s_waitcnt lgkmcnt(0)
	v_lshrrev_b32_e32 v18, 16, v8
	v_cndmask_b32_e64 v15, v2, v11, s[0:1]
	v_mul_f16_sdwa v11, v105, v18 dst_sel:DWORD dst_unused:UNUSED_PAD src0_sel:WORD_1 src1_sel:DWORD
	v_fma_f16 v11, v105, v8, v11
	v_cvt_f32_f16_e32 v11, v11
	v_cmp_ne_u32_e64 s[0:1], 0, v10
	v_cndmask_b32_e64 v10, 0, 1, s[0:1]
	v_lshl_or_b32 v19, v10, 9, v2
	v_cvt_f64_f32_e32 v[10:11], v11
	v_cmp_eq_u32_e64 s[0:1], s17, v14
	v_cndmask_b32_e64 v14, v15, v19, s[0:1]
	v_lshrrev_b32_e32 v6, 16, v6
	v_mul_f64 v[10:11], v[10:11], s[12:13]
	v_and_or_b32 v6, v6, s18, v14
	v_and_b32_e32 v0, 0xffff, v0
	v_add_co_u32_e64 v12, s[0:1], s10, v12
	v_lshl_or_b32 v0, v6, 16, v0
	v_addc_co_u32_e64 v13, s[0:1], v13, v1, s[0:1]
	global_store_dword v[12:13], v0, off
	v_and_or_b32 v0, v11, s19, v10
	v_cmp_ne_u32_e64 s[0:1], 0, v0
	v_cndmask_b32_e64 v0, 0, 1, s[0:1]
	v_lshrrev_b32_e32 v6, 8, v11
	v_bfe_u32 v10, v11, 20, 11
	v_and_or_b32 v0, v6, s16, v0
	v_sub_u32_e32 v14, 0x3f1, v10
	v_or_b32_e32 v6, 0x1000, v0
	v_med3_i32 v14, v14, 0, 13
	v_lshrrev_b32_e32 v15, v14, v6
	v_lshlrev_b32_e32 v14, v14, v15
	v_mul_f16_sdwa v8, v105, v8 dst_sel:DWORD dst_unused:UNUSED_PAD src0_sel:WORD_1 src1_sel:DWORD
	v_cmp_ne_u32_e64 s[0:1], v14, v6
	v_fma_f16 v8, v105, v18, -v8
	v_cndmask_b32_e64 v6, 0, 1, s[0:1]
	v_add_u32_e32 v10, 0xfffffc10, v10
	v_cvt_f32_f16_e32 v8, v8
	v_or_b32_e32 v6, v15, v6
	v_lshl_or_b32 v14, v10, 12, v0
	v_cmp_gt_i32_e64 s[0:1], 1, v10
	v_cndmask_b32_e64 v6, v14, v6, s[0:1]
	v_and_b32_e32 v14, 7, v6
	v_cmp_lt_i32_e64 s[0:1], 5, v14
	v_cmp_eq_u32_e64 s[2:3], 3, v14
	v_cvt_f64_f32_e32 v[14:15], v8
	v_lshrrev_b32_e32 v6, 2, v6
	s_or_b64 s[0:1], s[2:3], s[0:1]
	v_addc_co_u32_e64 v6, s[0:1], 0, v6, s[0:1]
	v_mul_f64 v[14:15], v[14:15], s[12:13]
	v_cmp_gt_i32_e64 s[0:1], 31, v10
	v_cndmask_b32_e64 v6, v2, v6, s[0:1]
	v_cmp_ne_u32_e64 s[0:1], 0, v0
	v_cndmask_b32_e64 v0, 0, 1, s[0:1]
	v_lshl_or_b32 v0, v0, 9, v2
	v_cmp_eq_u32_e64 s[0:1], s17, v10
	v_cndmask_b32_e64 v0, v6, v0, s[0:1]
	v_lshrrev_b32_e32 v6, 16, v11
	v_and_or_b32 v0, v6, s18, v0
	v_and_or_b32 v6, v15, s19, v14
	v_cmp_ne_u32_e64 s[0:1], 0, v6
	v_cndmask_b32_e64 v6, 0, 1, s[0:1]
	v_lshrrev_b32_e32 v8, 8, v15
	v_bfe_u32 v10, v15, 20, 11
	v_and_or_b32 v6, v8, s16, v6
	v_sub_u32_e32 v11, 0x3f1, v10
	v_or_b32_e32 v8, 0x1000, v6
	v_med3_i32 v11, v11, 0, 13
	v_lshrrev_b32_e32 v14, v11, v8
	v_lshlrev_b32_e32 v11, v11, v14
	v_cmp_ne_u32_e64 s[0:1], v11, v8
	v_cndmask_b32_e64 v8, 0, 1, s[0:1]
	v_or_b32_e32 v8, v14, v8
	v_add_u32_e32 v14, 0xfffffc10, v10
	v_lshl_or_b32 v10, v14, 12, v6
	v_cmp_gt_i32_e64 s[0:1], 1, v14
	v_cndmask_b32_e64 v8, v10, v8, s[0:1]
	v_and_b32_e32 v10, 7, v8
	v_lshrrev_b32_e32 v18, 16, v9
	v_cmp_lt_i32_e64 s[0:1], 5, v10
	v_cmp_eq_u32_e64 s[2:3], 3, v10
	v_mul_f16_sdwa v10, v104, v18 dst_sel:DWORD dst_unused:UNUSED_PAD src0_sel:WORD_1 src1_sel:DWORD
	v_fma_f16 v10, v104, v9, v10
	v_cvt_f32_f16_e32 v10, v10
	v_lshrrev_b32_e32 v8, 2, v8
	s_or_b64 s[0:1], s[2:3], s[0:1]
	v_addc_co_u32_e64 v8, s[0:1], 0, v8, s[0:1]
	v_cvt_f64_f32_e32 v[10:11], v10
	v_cmp_gt_i32_e64 s[0:1], 31, v14
	v_cndmask_b32_e64 v8, v2, v8, s[0:1]
	v_cmp_ne_u32_e64 s[0:1], 0, v6
	v_mul_f64 v[10:11], v[10:11], s[12:13]
	v_cndmask_b32_e64 v6, 0, 1, s[0:1]
	v_lshl_or_b32 v6, v6, 9, v2
	v_cmp_eq_u32_e64 s[0:1], s17, v14
	v_cndmask_b32_e64 v6, v8, v6, s[0:1]
	v_lshrrev_b32_e32 v8, 16, v15
	v_and_or_b32 v6, v8, s18, v6
	v_and_b32_e32 v0, 0xffff, v0
	v_add_co_u32_e64 v12, s[0:1], s10, v12
	v_lshl_or_b32 v0, v6, 16, v0
	v_addc_co_u32_e64 v13, s[0:1], v13, v1, s[0:1]
	global_store_dword v[12:13], v0, off
	v_and_or_b32 v0, v11, s19, v10
	v_cmp_ne_u32_e64 s[0:1], 0, v0
	v_cndmask_b32_e64 v0, 0, 1, s[0:1]
	v_lshrrev_b32_e32 v6, 8, v11
	v_bfe_u32 v8, v11, 20, 11
	v_and_or_b32 v0, v6, s16, v0
	v_sub_u32_e32 v10, 0x3f1, v8
	v_or_b32_e32 v6, 0x1000, v0
	v_med3_i32 v10, v10, 0, 13
	v_lshrrev_b32_e32 v14, v10, v6
	v_lshlrev_b32_e32 v10, v10, v14
	v_mul_f16_sdwa v9, v104, v9 dst_sel:DWORD dst_unused:UNUSED_PAD src0_sel:WORD_1 src1_sel:DWORD
	v_cmp_ne_u32_e64 s[0:1], v10, v6
	v_fma_f16 v9, v104, v18, -v9
	v_cndmask_b32_e64 v6, 0, 1, s[0:1]
	v_add_u32_e32 v10, 0xfffffc10, v8
	v_cvt_f32_f16_e32 v9, v9
	v_or_b32_e32 v6, v14, v6
	v_lshl_or_b32 v8, v10, 12, v0
	v_cmp_gt_i32_e64 s[0:1], 1, v10
	v_cndmask_b32_e64 v6, v8, v6, s[0:1]
	v_and_b32_e32 v8, 7, v6
	v_cmp_lt_i32_e64 s[0:1], 5, v8
	v_cmp_eq_u32_e64 s[2:3], 3, v8
	v_cvt_f64_f32_e32 v[8:9], v9
	v_lshrrev_b32_e32 v6, 2, v6
	s_or_b64 s[0:1], s[2:3], s[0:1]
	v_addc_co_u32_e64 v6, s[0:1], 0, v6, s[0:1]
	v_mul_f64 v[8:9], v[8:9], s[12:13]
	v_cmp_gt_i32_e64 s[0:1], 31, v10
	v_cndmask_b32_e64 v6, v2, v6, s[0:1]
	v_cmp_ne_u32_e64 s[0:1], 0, v0
	v_cndmask_b32_e64 v0, 0, 1, s[0:1]
	v_lshl_or_b32 v0, v0, 9, v2
	v_cmp_eq_u32_e64 s[0:1], s17, v10
	v_cndmask_b32_e64 v0, v6, v0, s[0:1]
	v_lshrrev_b32_e32 v6, 16, v11
	v_and_or_b32 v0, v6, s18, v0
	v_and_or_b32 v6, v9, s19, v8
	v_cmp_ne_u32_e64 s[0:1], 0, v6
	v_cndmask_b32_e64 v6, 0, 1, s[0:1]
	v_lshrrev_b32_e32 v8, 8, v9
	v_bfe_u32 v10, v9, 20, 11
	v_and_or_b32 v6, v8, s16, v6
	v_sub_u32_e32 v11, 0x3f1, v10
	v_or_b32_e32 v8, 0x1000, v6
	v_med3_i32 v11, v11, 0, 13
	v_lshrrev_b32_e32 v14, v11, v8
	v_lshlrev_b32_e32 v11, v11, v14
	v_cmp_ne_u32_e64 s[0:1], v11, v8
	v_cndmask_b32_e64 v8, 0, 1, s[0:1]
	v_add_u32_e32 v18, 0xfffffc10, v10
	v_or_b32_e32 v8, v14, v8
	v_lshl_or_b32 v10, v18, 12, v6
	v_cmp_gt_i32_e64 s[0:1], 1, v18
	v_cndmask_b32_e64 v8, v10, v8, s[0:1]
	v_and_b32_e32 v10, 7, v8
	v_cmp_lt_i32_e64 s[0:1], 5, v10
	v_cmp_eq_u32_e64 s[2:3], 3, v10
	ds_read2_b32 v[10:11], v72 offset0:106 offset1:205
	v_lshrrev_b32_e32 v8, 2, v8
	s_or_b64 s[0:1], s[2:3], s[0:1]
	v_addc_co_u32_e64 v8, s[0:1], 0, v8, s[0:1]
	s_waitcnt lgkmcnt(0)
	v_lshrrev_b32_e32 v19, 16, v10
	v_mul_f16_sdwa v14, v103, v19 dst_sel:DWORD dst_unused:UNUSED_PAD src0_sel:WORD_1 src1_sel:DWORD
	v_fma_f16 v14, v103, v10, v14
	v_cvt_f32_f16_e32 v14, v14
	v_cmp_gt_i32_e64 s[0:1], 31, v18
	v_cndmask_b32_e64 v8, v2, v8, s[0:1]
	v_cmp_ne_u32_e64 s[0:1], 0, v6
	v_cvt_f64_f32_e32 v[14:15], v14
	v_cndmask_b32_e64 v6, 0, 1, s[0:1]
	v_lshl_or_b32 v6, v6, 9, v2
	v_cmp_eq_u32_e64 s[0:1], s17, v18
	v_cndmask_b32_e64 v6, v8, v6, s[0:1]
	v_lshrrev_b32_e32 v8, 16, v9
	v_and_or_b32 v6, v8, s18, v6
	v_mul_f64 v[8:9], v[14:15], s[12:13]
	v_and_b32_e32 v0, 0xffff, v0
	v_add_co_u32_e64 v12, s[0:1], s10, v12
	v_lshl_or_b32 v0, v6, 16, v0
	v_addc_co_u32_e64 v13, s[0:1], v13, v1, s[0:1]
	global_store_dword v[12:13], v0, off
	v_and_or_b32 v0, v9, s19, v8
	v_cmp_ne_u32_e64 s[0:1], 0, v0
	v_cndmask_b32_e64 v0, 0, 1, s[0:1]
	v_lshrrev_b32_e32 v6, 8, v9
	v_bfe_u32 v8, v9, 20, 11
	v_and_or_b32 v0, v6, s16, v0
	v_sub_u32_e32 v14, 0x3f1, v8
	v_or_b32_e32 v6, 0x1000, v0
	v_med3_i32 v14, v14, 0, 13
	v_lshrrev_b32_e32 v15, v14, v6
	v_lshlrev_b32_e32 v14, v14, v15
	v_mul_f16_sdwa v10, v103, v10 dst_sel:DWORD dst_unused:UNUSED_PAD src0_sel:WORD_1 src1_sel:DWORD
	v_cmp_ne_u32_e64 s[0:1], v14, v6
	v_fma_f16 v10, v103, v19, -v10
	v_cndmask_b32_e64 v6, 0, 1, s[0:1]
	v_add_u32_e32 v8, 0xfffffc10, v8
	v_cvt_f32_f16_e32 v10, v10
	v_or_b32_e32 v6, v15, v6
	v_lshl_or_b32 v14, v8, 12, v0
	v_cmp_gt_i32_e64 s[0:1], 1, v8
	v_cndmask_b32_e64 v6, v14, v6, s[0:1]
	v_and_b32_e32 v14, 7, v6
	v_cmp_lt_i32_e64 s[0:1], 5, v14
	v_cmp_eq_u32_e64 s[2:3], 3, v14
	v_cvt_f64_f32_e32 v[14:15], v10
	v_lshrrev_b32_e32 v6, 2, v6
	s_or_b64 s[0:1], s[2:3], s[0:1]
	v_addc_co_u32_e64 v6, s[0:1], 0, v6, s[0:1]
	v_mul_f64 v[14:15], v[14:15], s[12:13]
	v_cmp_gt_i32_e64 s[0:1], 31, v8
	v_cndmask_b32_e64 v6, v2, v6, s[0:1]
	v_cmp_ne_u32_e64 s[0:1], 0, v0
	v_cndmask_b32_e64 v0, 0, 1, s[0:1]
	v_lshl_or_b32 v0, v0, 9, v2
	v_cmp_eq_u32_e64 s[0:1], s17, v8
	v_cndmask_b32_e64 v0, v6, v0, s[0:1]
	v_lshrrev_b32_e32 v6, 16, v9
	v_and_or_b32 v0, v6, s18, v0
	v_and_or_b32 v6, v15, s19, v14
	v_cmp_ne_u32_e64 s[0:1], 0, v6
	v_cndmask_b32_e64 v6, 0, 1, s[0:1]
	v_lshrrev_b32_e32 v8, 8, v15
	v_bfe_u32 v9, v15, 20, 11
	v_and_or_b32 v6, v8, s16, v6
	v_sub_u32_e32 v10, 0x3f1, v9
	v_or_b32_e32 v8, 0x1000, v6
	v_med3_i32 v10, v10, 0, 13
	v_lshrrev_b32_e32 v14, v10, v8
	v_lshlrev_b32_e32 v10, v10, v14
	v_cmp_ne_u32_e64 s[0:1], v10, v8
	v_cndmask_b32_e64 v8, 0, 1, s[0:1]
	v_add_u32_e32 v10, 0xfffffc10, v9
	v_or_b32_e32 v8, v14, v8
	v_lshl_or_b32 v9, v10, 12, v6
	v_cmp_gt_i32_e64 s[0:1], 1, v10
	v_cndmask_b32_e64 v8, v9, v8, s[0:1]
	v_and_b32_e32 v9, 7, v8
	v_cmp_lt_i32_e64 s[0:1], 5, v9
	v_cmp_eq_u32_e64 s[2:3], 3, v9
	v_lshrrev_b32_e32 v8, 2, v8
	s_or_b64 s[0:1], s[2:3], s[0:1]
	v_addc_co_u32_e64 v8, s[0:1], 0, v8, s[0:1]
	v_cmp_gt_i32_e64 s[0:1], 31, v10
	v_lshrrev_b32_e32 v18, 16, v11
	v_cndmask_b32_e64 v14, v2, v8, s[0:1]
	v_mul_f16_sdwa v8, v101, v18 dst_sel:DWORD dst_unused:UNUSED_PAD src0_sel:WORD_1 src1_sel:DWORD
	v_fma_f16 v8, v101, v11, v8
	v_cvt_f32_f16_e32 v8, v8
	v_cmp_ne_u32_e64 s[0:1], 0, v6
	v_cndmask_b32_e64 v6, 0, 1, s[0:1]
	v_lshl_or_b32 v6, v6, 9, v2
	v_cvt_f64_f32_e32 v[8:9], v8
	v_cmp_eq_u32_e64 s[0:1], s17, v10
	v_cndmask_b32_e64 v6, v14, v6, s[0:1]
	v_lshrrev_b32_e32 v10, 16, v15
	v_mul_f64 v[8:9], v[8:9], s[12:13]
	v_and_or_b32 v6, v10, s18, v6
	v_and_b32_e32 v0, 0xffff, v0
	v_add_co_u32_e64 v12, s[0:1], s10, v12
	v_lshl_or_b32 v0, v6, 16, v0
	v_addc_co_u32_e64 v13, s[0:1], v13, v1, s[0:1]
	global_store_dword v[12:13], v0, off
	v_and_or_b32 v0, v9, s19, v8
	v_cmp_ne_u32_e64 s[0:1], 0, v0
	v_cndmask_b32_e64 v0, 0, 1, s[0:1]
	v_lshrrev_b32_e32 v6, 8, v9
	v_bfe_u32 v8, v9, 20, 11
	v_and_or_b32 v0, v6, s16, v0
	v_sub_u32_e32 v10, 0x3f1, v8
	v_or_b32_e32 v6, 0x1000, v0
	v_med3_i32 v10, v10, 0, 13
	v_lshrrev_b32_e32 v14, v10, v6
	v_lshlrev_b32_e32 v10, v10, v14
	v_mul_f16_sdwa v11, v101, v11 dst_sel:DWORD dst_unused:UNUSED_PAD src0_sel:WORD_1 src1_sel:DWORD
	v_cmp_ne_u32_e64 s[0:1], v10, v6
	v_fma_f16 v11, v101, v18, -v11
	v_cndmask_b32_e64 v6, 0, 1, s[0:1]
	v_add_u32_e32 v8, 0xfffffc10, v8
	v_cvt_f32_f16_e32 v11, v11
	v_or_b32_e32 v6, v14, v6
	v_lshl_or_b32 v10, v8, 12, v0
	v_cmp_gt_i32_e64 s[0:1], 1, v8
	v_cndmask_b32_e64 v6, v10, v6, s[0:1]
	v_and_b32_e32 v10, 7, v6
	v_cmp_lt_i32_e64 s[0:1], 5, v10
	v_cmp_eq_u32_e64 s[2:3], 3, v10
	v_cvt_f64_f32_e32 v[10:11], v11
	v_lshrrev_b32_e32 v6, 2, v6
	s_or_b64 s[0:1], s[2:3], s[0:1]
	v_addc_co_u32_e64 v6, s[0:1], 0, v6, s[0:1]
	v_mul_f64 v[10:11], v[10:11], s[12:13]
	v_cmp_gt_i32_e64 s[0:1], 31, v8
	v_cndmask_b32_e64 v6, v2, v6, s[0:1]
	v_cmp_ne_u32_e64 s[0:1], 0, v0
	v_cndmask_b32_e64 v0, 0, 1, s[0:1]
	v_lshl_or_b32 v0, v0, 9, v2
	v_cmp_eq_u32_e64 s[0:1], s17, v8
	v_cndmask_b32_e64 v0, v6, v0, s[0:1]
	v_lshrrev_b32_e32 v6, 16, v9
	v_and_or_b32 v0, v6, s18, v0
	v_and_or_b32 v6, v11, s19, v10
	v_cmp_ne_u32_e64 s[0:1], 0, v6
	v_cndmask_b32_e64 v6, 0, 1, s[0:1]
	v_lshrrev_b32_e32 v8, 8, v11
	v_bfe_u32 v9, v11, 20, 11
	v_and_or_b32 v6, v8, s16, v6
	v_sub_u32_e32 v10, 0x3f1, v9
	v_or_b32_e32 v8, 0x1000, v6
	v_med3_i32 v10, v10, 0, 13
	v_lshrrev_b32_e32 v14, v10, v8
	v_lshlrev_b32_e32 v10, v10, v14
	v_cmp_ne_u32_e64 s[0:1], v10, v8
	v_cndmask_b32_e64 v8, 0, 1, s[0:1]
	v_add_u32_e32 v10, 0xfffffc10, v9
	v_or_b32_e32 v8, v14, v8
	v_lshl_or_b32 v9, v10, 12, v6
	v_cmp_gt_i32_e64 s[0:1], 1, v10
	v_cndmask_b32_e64 v8, v9, v8, s[0:1]
	ds_read_b32 v14, v99 offset:6336
	v_and_b32_e32 v9, 7, v8
	v_cmp_lt_i32_e64 s[0:1], 5, v9
	v_cmp_eq_u32_e64 s[2:3], 3, v9
	v_lshrrev_b32_e32 v8, 2, v8
	s_or_b64 s[0:1], s[2:3], s[0:1]
	v_addc_co_u32_e64 v8, s[0:1], 0, v8, s[0:1]
	v_cmp_gt_i32_e64 s[0:1], 31, v10
	s_waitcnt lgkmcnt(0)
	v_lshrrev_b32_e32 v18, 16, v14
	v_cndmask_b32_e64 v15, v2, v8, s[0:1]
	v_mul_f16_sdwa v8, v102, v18 dst_sel:DWORD dst_unused:UNUSED_PAD src0_sel:WORD_1 src1_sel:DWORD
	v_fma_f16 v8, v102, v14, v8
	v_cvt_f32_f16_e32 v8, v8
	v_cmp_ne_u32_e64 s[0:1], 0, v6
	v_cndmask_b32_e64 v6, 0, 1, s[0:1]
	v_lshl_or_b32 v6, v6, 9, v2
	v_cvt_f64_f32_e32 v[8:9], v8
	v_cmp_eq_u32_e64 s[0:1], s17, v10
	v_cndmask_b32_e64 v6, v15, v6, s[0:1]
	v_lshrrev_b32_e32 v10, 16, v11
	v_mul_f64 v[8:9], v[8:9], s[12:13]
	v_and_or_b32 v6, v10, s18, v6
	v_and_b32_e32 v0, 0xffff, v0
	v_add_co_u32_e64 v10, s[0:1], s10, v12
	v_lshl_or_b32 v0, v6, 16, v0
	v_addc_co_u32_e64 v11, s[0:1], v13, v1, s[0:1]
	global_store_dword v[10:11], v0, off
	v_and_or_b32 v0, v9, s19, v8
	v_cmp_ne_u32_e64 s[0:1], 0, v0
	v_cndmask_b32_e64 v0, 0, 1, s[0:1]
	v_lshrrev_b32_e32 v6, 8, v9
	v_bfe_u32 v8, v9, 20, 11
	v_and_or_b32 v0, v6, s16, v0
	v_sub_u32_e32 v12, 0x3f1, v8
	v_or_b32_e32 v6, 0x1000, v0
	v_med3_i32 v12, v12, 0, 13
	v_lshrrev_b32_e32 v13, v12, v6
	v_lshlrev_b32_e32 v12, v12, v13
	v_cmp_ne_u32_e64 s[0:1], v12, v6
	v_cndmask_b32_e64 v6, 0, 1, s[0:1]
	v_or_b32_e32 v6, v13, v6
	v_mul_f16_sdwa v13, v102, v14 dst_sel:DWORD dst_unused:UNUSED_PAD src0_sel:WORD_1 src1_sel:DWORD
	v_fma_f16 v13, v102, v18, -v13
	v_add_u32_e32 v8, 0xfffffc10, v8
	v_cvt_f32_f16_e32 v13, v13
	v_lshl_or_b32 v12, v8, 12, v0
	v_cmp_gt_i32_e64 s[0:1], 1, v8
	v_cndmask_b32_e64 v6, v12, v6, s[0:1]
	v_and_b32_e32 v12, 7, v6
	v_cmp_lt_i32_e64 s[0:1], 5, v12
	v_cmp_eq_u32_e64 s[2:3], 3, v12
	v_cvt_f64_f32_e32 v[12:13], v13
	v_lshrrev_b32_e32 v6, 2, v6
	s_or_b64 s[0:1], s[2:3], s[0:1]
	v_addc_co_u32_e64 v6, s[0:1], 0, v6, s[0:1]
	v_mul_f64 v[12:13], v[12:13], s[12:13]
	v_cmp_gt_i32_e64 s[0:1], 31, v8
	v_cndmask_b32_e64 v6, v2, v6, s[0:1]
	v_cmp_ne_u32_e64 s[0:1], 0, v0
	v_cndmask_b32_e64 v0, 0, 1, s[0:1]
	v_lshl_or_b32 v0, v0, 9, v2
	v_cmp_eq_u32_e64 s[0:1], s17, v8
	v_cndmask_b32_e64 v0, v6, v0, s[0:1]
	v_lshrrev_b32_e32 v6, 16, v9
	v_and_or_b32 v0, v6, s18, v0
	v_and_or_b32 v6, v13, s19, v12
	v_cmp_ne_u32_e64 s[0:1], 0, v6
	v_cndmask_b32_e64 v6, 0, 1, s[0:1]
	v_lshrrev_b32_e32 v8, 8, v13
	v_bfe_u32 v9, v13, 20, 11
	v_and_or_b32 v6, v8, s16, v6
	v_sub_u32_e32 v12, 0x3f1, v9
	v_or_b32_e32 v8, 0x1000, v6
	v_med3_i32 v12, v12, 0, 13
	v_lshrrev_b32_e32 v14, v12, v8
	v_lshlrev_b32_e32 v12, v12, v14
	v_cmp_ne_u32_e64 s[0:1], v12, v8
	v_cndmask_b32_e64 v8, 0, 1, s[0:1]
	v_add_u32_e32 v9, 0xfffffc10, v9
	v_or_b32_e32 v8, v14, v8
	v_lshl_or_b32 v12, v9, 12, v6
	v_cmp_gt_i32_e64 s[0:1], 1, v9
	v_cndmask_b32_e64 v8, v12, v8, s[0:1]
	v_and_b32_e32 v12, 7, v8
	v_cmp_lt_i32_e64 s[0:1], 5, v12
	v_cmp_eq_u32_e64 s[2:3], 3, v12
	v_lshrrev_b32_e32 v8, 2, v8
	s_or_b64 s[0:1], s[2:3], s[0:1]
	v_addc_co_u32_e64 v8, s[0:1], 0, v8, s[0:1]
	v_cmp_gt_i32_e64 s[0:1], 31, v9
	v_cndmask_b32_e64 v8, v2, v8, s[0:1]
	v_cmp_ne_u32_e64 s[0:1], 0, v6
	v_cndmask_b32_e64 v6, 0, 1, s[0:1]
	v_lshl_or_b32 v6, v6, 9, v2
	v_cmp_eq_u32_e64 s[0:1], s17, v9
	v_cndmask_b32_e64 v6, v8, v6, s[0:1]
	v_lshrrev_b32_e32 v8, 16, v13
	v_and_or_b32 v6, v8, s18, v6
	v_and_b32_e32 v0, 0xffff, v0
	v_lshl_or_b32 v6, v6, 16, v0
	v_add_co_u32_e64 v0, s[0:1], s10, v10
	v_addc_co_u32_e64 v1, s[0:1], v11, v1, s[0:1]
	global_store_dword v[0:1], v6, off
	s_and_b64 exec, exec, vcc
	s_cbranch_execz .LBB0_15
; %bb.14:
	global_load_dword v6, v[16:17], off offset:204
	ds_read2_b32 v[8:9], v99 offset0:51 offset1:150
	s_waitcnt lgkmcnt(0)
	v_lshrrev_b32_e32 v10, 16, v8
	s_waitcnt vmcnt(0)
	v_mul_f16_sdwa v11, v10, v6 dst_sel:DWORD dst_unused:UNUSED_PAD src0_sel:DWORD src1_sel:WORD_1
	v_fma_f16 v11, v8, v6, v11
	v_mul_f16_sdwa v8, v8, v6 dst_sel:DWORD dst_unused:UNUSED_PAD src0_sel:DWORD src1_sel:WORD_1
	v_cvt_f32_f16_e32 v11, v11
	v_fma_f16 v6, v6, v10, -v8
	v_cvt_f32_f16_e32 v6, v6
	v_cvt_f64_f32_e32 v[10:11], v11
	v_cvt_f64_f32_e32 v[12:13], v6
	v_mov_b32_e32 v6, 0xffffe80c
	v_mul_f64 v[10:11], v[10:11], s[12:13]
	v_mad_u64_u32 v[0:1], s[0:1], s8, v6, v[0:1]
	v_mul_f64 v[12:13], v[12:13], s[12:13]
	s_mul_i32 s0, s9, 0xffffe80c
	s_sub_i32 s0, s0, s8
	v_add_u32_e32 v1, s0, v1
	v_and_or_b32 v6, v11, s19, v10
	v_cmp_ne_u32_e32 vcc, 0, v6
	v_lshrrev_b32_e32 v8, 8, v11
	v_and_or_b32 v12, v13, s19, v12
	v_bfe_u32 v10, v11, 20, 11
	v_cndmask_b32_e64 v6, 0, 1, vcc
	v_cmp_ne_u32_e32 vcc, 0, v12
	v_lshrrev_b32_e32 v14, 8, v13
	v_bfe_u32 v15, v13, 20, 11
	v_sub_u32_e32 v18, 0x3f1, v10
	v_cndmask_b32_e64 v12, 0, 1, vcc
	v_and_or_b32 v6, v8, s16, v6
	v_sub_u32_e32 v19, 0x3f1, v15
	v_med3_i32 v8, v18, 0, 13
	v_and_or_b32 v12, v14, s16, v12
	v_or_b32_e32 v18, 0x1000, v6
	v_add_u32_e32 v10, 0xfffffc10, v10
	v_med3_i32 v14, v19, 0, 13
	v_cmp_ne_u32_e32 vcc, 0, v6
	v_or_b32_e32 v20, 0x1000, v12
	v_lshrrev_b32_e32 v22, v8, v18
	v_add_u32_e32 v15, 0xfffffc10, v15
	v_lshl_or_b32 v19, v10, 12, v6
	v_cndmask_b32_e64 v6, 0, 1, vcc
	v_cmp_ne_u32_e32 vcc, 0, v12
	v_lshrrev_b32_e32 v23, v14, v20
	v_lshlrev_b32_e32 v8, v8, v22
	v_lshl_or_b32 v21, v15, 12, v12
	v_cndmask_b32_e64 v12, 0, 1, vcc
	v_lshlrev_b32_e32 v14, v14, v23
	v_cmp_ne_u32_e32 vcc, v8, v18
	v_cndmask_b32_e64 v8, 0, 1, vcc
	v_cmp_ne_u32_e32 vcc, v14, v20
	v_cndmask_b32_e64 v14, 0, 1, vcc
	v_or_b32_e32 v8, v22, v8
	v_cmp_gt_i32_e32 vcc, 1, v10
	v_cndmask_b32_e32 v8, v19, v8, vcc
	v_or_b32_e32 v14, v23, v14
	v_cmp_gt_i32_e32 vcc, 1, v15
	v_and_b32_e32 v18, 7, v8
	v_cndmask_b32_e32 v14, v21, v14, vcc
	v_cmp_lt_i32_e32 vcc, 5, v18
	v_cmp_eq_u32_e64 s[0:1], 3, v18
	v_lshrrev_b32_e32 v8, 2, v8
	v_and_b32_e32 v19, 7, v14
	s_or_b64 vcc, s[0:1], vcc
	v_cmp_lt_i32_e64 s[2:3], 5, v19
	v_cmp_eq_u32_e64 s[4:5], 3, v19
	v_addc_co_u32_e32 v8, vcc, 0, v8, vcc
	v_lshrrev_b32_e32 v14, 2, v14
	s_or_b64 vcc, s[4:5], s[2:3]
	v_addc_co_u32_e32 v14, vcc, 0, v14, vcc
	v_cmp_gt_i32_e32 vcc, 31, v10
	v_cndmask_b32_e32 v8, v2, v8, vcc
	v_cmp_gt_i32_e32 vcc, 31, v15
	v_lshl_or_b32 v6, v6, 9, v2
	v_cndmask_b32_e32 v14, v2, v14, vcc
	v_cmp_eq_u32_e32 vcc, s17, v10
	v_lshrrev_b32_e32 v11, 16, v11
	v_lshl_or_b32 v12, v12, 9, v2
	v_cndmask_b32_e32 v6, v8, v6, vcc
	v_cmp_eq_u32_e32 vcc, s17, v15
	v_lshrrev_b32_e32 v13, 16, v13
	v_cndmask_b32_e32 v8, v14, v12, vcc
	v_and_or_b32 v6, v11, s18, v6
	v_and_or_b32 v8, v13, s18, v8
	v_and_b32_e32 v6, 0xffff, v6
	v_lshl_or_b32 v6, v8, 16, v6
	global_store_dword v[0:1], v6, off
	global_load_dword v6, v[16:17], off offset:600
	v_lshrrev_b32_e32 v8, 16, v9
	v_add_co_u32_e32 v0, vcc, s10, v0
	s_waitcnt vmcnt(0)
	v_mul_f16_sdwa v10, v8, v6 dst_sel:DWORD dst_unused:UNUSED_PAD src0_sel:DWORD src1_sel:WORD_1
	v_fma_f16 v10, v9, v6, v10
	v_mul_f16_sdwa v9, v9, v6 dst_sel:DWORD dst_unused:UNUSED_PAD src0_sel:DWORD src1_sel:WORD_1
	v_cvt_f32_f16_e32 v10, v10
	v_fma_f16 v6, v6, v8, -v9
	v_cvt_f32_f16_e32 v6, v6
	v_cvt_f64_f32_e32 v[8:9], v10
	v_cvt_f64_f32_e32 v[10:11], v6
	v_mov_b32_e32 v6, s11
	v_mul_f64 v[8:9], v[8:9], s[12:13]
	v_addc_co_u32_e32 v1, vcc, v1, v6, vcc
	v_mul_f64 v[10:11], v[10:11], s[12:13]
	v_and_or_b32 v8, v9, s19, v8
	v_cmp_ne_u32_e32 vcc, 0, v8
	v_lshrrev_b32_e32 v12, 8, v9
	v_and_or_b32 v10, v11, s19, v10
	v_bfe_u32 v13, v9, 20, 11
	v_cndmask_b32_e64 v8, 0, 1, vcc
	v_cmp_ne_u32_e32 vcc, 0, v10
	v_lshrrev_b32_e32 v14, 8, v11
	v_bfe_u32 v15, v11, 20, 11
	v_sub_u32_e32 v18, 0x3f1, v13
	v_cndmask_b32_e64 v10, 0, 1, vcc
	v_and_or_b32 v8, v12, s16, v8
	v_sub_u32_e32 v19, 0x3f1, v15
	v_med3_i32 v12, v18, 0, 13
	v_and_or_b32 v10, v14, s16, v10
	v_or_b32_e32 v18, 0x1000, v8
	v_add_u32_e32 v13, 0xfffffc10, v13
	v_med3_i32 v14, v19, 0, 13
	v_cmp_ne_u32_e32 vcc, 0, v8
	v_or_b32_e32 v20, 0x1000, v10
	v_lshrrev_b32_e32 v22, v12, v18
	v_add_u32_e32 v15, 0xfffffc10, v15
	v_lshl_or_b32 v19, v13, 12, v8
	v_cndmask_b32_e64 v8, 0, 1, vcc
	v_cmp_ne_u32_e32 vcc, 0, v10
	v_lshrrev_b32_e32 v23, v14, v20
	v_lshlrev_b32_e32 v12, v12, v22
	v_lshl_or_b32 v21, v15, 12, v10
	v_cndmask_b32_e64 v10, 0, 1, vcc
	v_lshlrev_b32_e32 v14, v14, v23
	v_cmp_ne_u32_e32 vcc, v12, v18
	v_cndmask_b32_e64 v12, 0, 1, vcc
	v_cmp_ne_u32_e32 vcc, v14, v20
	v_cndmask_b32_e64 v14, 0, 1, vcc
	v_or_b32_e32 v12, v22, v12
	v_cmp_gt_i32_e32 vcc, 1, v13
	v_cndmask_b32_e32 v12, v19, v12, vcc
	v_or_b32_e32 v14, v23, v14
	v_cmp_gt_i32_e32 vcc, 1, v15
	v_and_b32_e32 v18, 7, v12
	v_cndmask_b32_e32 v14, v21, v14, vcc
	v_cmp_lt_i32_e32 vcc, 5, v18
	v_cmp_eq_u32_e64 s[0:1], 3, v18
	v_lshrrev_b32_e32 v12, 2, v12
	v_and_b32_e32 v19, 7, v14
	s_or_b64 vcc, s[0:1], vcc
	v_cmp_lt_i32_e64 s[2:3], 5, v19
	v_cmp_eq_u32_e64 s[4:5], 3, v19
	v_addc_co_u32_e32 v12, vcc, 0, v12, vcc
	v_lshrrev_b32_e32 v14, 2, v14
	s_or_b64 vcc, s[4:5], s[2:3]
	v_addc_co_u32_e32 v14, vcc, 0, v14, vcc
	v_cmp_gt_i32_e32 vcc, 31, v13
	v_cndmask_b32_e32 v12, v2, v12, vcc
	v_cmp_gt_i32_e32 vcc, 31, v15
	v_lshl_or_b32 v8, v8, 9, v2
	v_cndmask_b32_e32 v14, v2, v14, vcc
	v_cmp_eq_u32_e32 vcc, s17, v13
	v_lshrrev_b32_e32 v9, 16, v9
	v_lshl_or_b32 v10, v10, 9, v2
	v_cndmask_b32_e32 v8, v12, v8, vcc
	v_cmp_eq_u32_e32 vcc, s17, v15
	v_lshrrev_b32_e32 v11, 16, v11
	v_cndmask_b32_e32 v10, v14, v10, vcc
	v_and_or_b32 v8, v9, s18, v8
	v_and_or_b32 v9, v11, s18, v10
	v_and_b32_e32 v8, 0xffff, v8
	v_lshl_or_b32 v8, v9, 16, v8
	global_store_dword v[0:1], v8, off
	global_load_dword v9, v[16:17], off offset:996
	ds_read2_b32 v[7:8], v7 offset0:121 offset1:220
	v_add_co_u32_e32 v0, vcc, s10, v0
	v_addc_co_u32_e32 v1, vcc, v1, v6, vcc
	s_waitcnt lgkmcnt(0)
	v_lshrrev_b32_e32 v10, 16, v7
	s_waitcnt vmcnt(0)
	v_mul_f16_sdwa v11, v10, v9 dst_sel:DWORD dst_unused:UNUSED_PAD src0_sel:DWORD src1_sel:WORD_1
	v_fma_f16 v11, v7, v9, v11
	v_mul_f16_sdwa v7, v7, v9 dst_sel:DWORD dst_unused:UNUSED_PAD src0_sel:DWORD src1_sel:WORD_1
	v_cvt_f32_f16_e32 v11, v11
	v_fma_f16 v7, v9, v10, -v7
	v_cvt_f32_f16_e32 v7, v7
	v_cvt_f64_f32_e32 v[9:10], v11
	v_cvt_f64_f32_e32 v[11:12], v7
	v_mul_f64 v[9:10], v[9:10], s[12:13]
	v_mul_f64 v[11:12], v[11:12], s[12:13]
	v_and_or_b32 v7, v10, s19, v9
	v_cmp_ne_u32_e32 vcc, 0, v7
	v_and_or_b32 v11, v12, s19, v11
	v_lshrrev_b32_e32 v9, 8, v10
	v_bfe_u32 v13, v10, 20, 11
	v_cndmask_b32_e64 v7, 0, 1, vcc
	v_cmp_ne_u32_e32 vcc, 0, v11
	v_lshrrev_b32_e32 v14, 8, v12
	v_bfe_u32 v15, v12, 20, 11
	v_sub_u32_e32 v18, 0x3f1, v13
	v_cndmask_b32_e64 v11, 0, 1, vcc
	v_and_or_b32 v7, v9, s16, v7
	v_sub_u32_e32 v19, 0x3f1, v15
	v_med3_i32 v9, v18, 0, 13
	v_and_or_b32 v11, v14, s16, v11
	v_or_b32_e32 v18, 0x1000, v7
	v_add_u32_e32 v13, 0xfffffc10, v13
	v_med3_i32 v14, v19, 0, 13
	v_cmp_ne_u32_e32 vcc, 0, v7
	v_or_b32_e32 v20, 0x1000, v11
	v_lshrrev_b32_e32 v22, v9, v18
	v_add_u32_e32 v15, 0xfffffc10, v15
	v_lshl_or_b32 v19, v13, 12, v7
	v_cndmask_b32_e64 v7, 0, 1, vcc
	v_cmp_ne_u32_e32 vcc, 0, v11
	v_lshrrev_b32_e32 v23, v14, v20
	v_lshlrev_b32_e32 v9, v9, v22
	v_lshl_or_b32 v21, v15, 12, v11
	v_cndmask_b32_e64 v11, 0, 1, vcc
	v_lshlrev_b32_e32 v14, v14, v23
	v_cmp_ne_u32_e32 vcc, v9, v18
	v_cndmask_b32_e64 v9, 0, 1, vcc
	v_cmp_ne_u32_e32 vcc, v14, v20
	v_cndmask_b32_e64 v14, 0, 1, vcc
	v_or_b32_e32 v9, v22, v9
	v_cmp_gt_i32_e32 vcc, 1, v13
	v_cndmask_b32_e32 v9, v19, v9, vcc
	v_or_b32_e32 v14, v23, v14
	v_cmp_gt_i32_e32 vcc, 1, v15
	v_and_b32_e32 v18, 7, v9
	v_cndmask_b32_e32 v14, v21, v14, vcc
	v_cmp_lt_i32_e32 vcc, 5, v18
	v_cmp_eq_u32_e64 s[0:1], 3, v18
	v_lshrrev_b32_e32 v9, 2, v9
	v_and_b32_e32 v19, 7, v14
	s_or_b64 vcc, s[0:1], vcc
	v_cmp_lt_i32_e64 s[2:3], 5, v19
	v_cmp_eq_u32_e64 s[4:5], 3, v19
	v_addc_co_u32_e32 v9, vcc, 0, v9, vcc
	v_lshrrev_b32_e32 v14, 2, v14
	s_or_b64 vcc, s[4:5], s[2:3]
	v_addc_co_u32_e32 v14, vcc, 0, v14, vcc
	v_cmp_gt_i32_e32 vcc, 31, v13
	v_cndmask_b32_e32 v9, v2, v9, vcc
	v_cmp_gt_i32_e32 vcc, 31, v15
	v_lshl_or_b32 v7, v7, 9, v2
	v_cndmask_b32_e32 v14, v2, v14, vcc
	v_cmp_eq_u32_e32 vcc, s17, v13
	v_lshrrev_b32_e32 v10, 16, v10
	v_lshl_or_b32 v11, v11, 9, v2
	v_cndmask_b32_e32 v7, v9, v7, vcc
	v_cmp_eq_u32_e32 vcc, s17, v15
	v_lshrrev_b32_e32 v12, 16, v12
	v_cndmask_b32_e32 v9, v14, v11, vcc
	v_and_or_b32 v7, v10, s18, v7
	v_and_or_b32 v9, v12, s18, v9
	v_and_b32_e32 v7, 0xffff, v7
	v_lshl_or_b32 v7, v9, 16, v7
	global_store_dword v[0:1], v7, off
	global_load_dword v7, v[16:17], off offset:1392
	v_lshrrev_b32_e32 v9, 16, v8
	v_add_co_u32_e32 v0, vcc, s10, v0
	v_addc_co_u32_e32 v1, vcc, v1, v6, vcc
	s_waitcnt vmcnt(0)
	v_mul_f16_sdwa v10, v9, v7 dst_sel:DWORD dst_unused:UNUSED_PAD src0_sel:DWORD src1_sel:WORD_1
	v_fma_f16 v10, v8, v7, v10
	v_mul_f16_sdwa v8, v8, v7 dst_sel:DWORD dst_unused:UNUSED_PAD src0_sel:DWORD src1_sel:WORD_1
	v_cvt_f32_f16_e32 v10, v10
	v_fma_f16 v7, v7, v9, -v8
	v_cvt_f32_f16_e32 v9, v7
	v_cvt_f64_f32_e32 v[7:8], v10
	v_cvt_f64_f32_e32 v[9:10], v9
	v_mul_f64 v[7:8], v[7:8], s[12:13]
	v_mul_f64 v[9:10], v[9:10], s[12:13]
	v_and_or_b32 v7, v8, s19, v7
	v_cmp_ne_u32_e32 vcc, 0, v7
	v_and_or_b32 v9, v10, s19, v9
	v_lshrrev_b32_e32 v11, 8, v8
	v_bfe_u32 v12, v8, 20, 11
	v_cndmask_b32_e64 v7, 0, 1, vcc
	v_cmp_ne_u32_e32 vcc, 0, v9
	v_lshrrev_b32_e32 v13, 8, v10
	v_bfe_u32 v14, v10, 20, 11
	v_sub_u32_e32 v15, 0x3f1, v12
	v_cndmask_b32_e64 v9, 0, 1, vcc
	v_and_or_b32 v7, v11, s16, v7
	v_sub_u32_e32 v18, 0x3f1, v14
	v_med3_i32 v11, v15, 0, 13
	v_and_or_b32 v9, v13, s16, v9
	v_or_b32_e32 v15, 0x1000, v7
	v_add_u32_e32 v12, 0xfffffc10, v12
	v_med3_i32 v13, v18, 0, 13
	v_cmp_ne_u32_e32 vcc, 0, v7
	v_or_b32_e32 v19, 0x1000, v9
	v_lshrrev_b32_e32 v21, v11, v15
	v_add_u32_e32 v14, 0xfffffc10, v14
	v_lshl_or_b32 v18, v12, 12, v7
	v_cndmask_b32_e64 v7, 0, 1, vcc
	v_cmp_ne_u32_e32 vcc, 0, v9
	v_lshrrev_b32_e32 v22, v13, v19
	v_lshlrev_b32_e32 v11, v11, v21
	v_lshl_or_b32 v20, v14, 12, v9
	v_cndmask_b32_e64 v9, 0, 1, vcc
	v_lshlrev_b32_e32 v13, v13, v22
	v_cmp_ne_u32_e32 vcc, v11, v15
	v_cndmask_b32_e64 v11, 0, 1, vcc
	v_cmp_ne_u32_e32 vcc, v13, v19
	v_cndmask_b32_e64 v13, 0, 1, vcc
	v_or_b32_e32 v11, v21, v11
	v_cmp_gt_i32_e32 vcc, 1, v12
	v_cndmask_b32_e32 v11, v18, v11, vcc
	v_or_b32_e32 v13, v22, v13
	v_cmp_gt_i32_e32 vcc, 1, v14
	v_and_b32_e32 v15, 7, v11
	v_cndmask_b32_e32 v13, v20, v13, vcc
	v_cmp_lt_i32_e32 vcc, 5, v15
	v_cmp_eq_u32_e64 s[0:1], 3, v15
	v_lshrrev_b32_e32 v11, 2, v11
	v_and_b32_e32 v18, 7, v13
	s_or_b64 vcc, s[0:1], vcc
	v_cmp_lt_i32_e64 s[2:3], 5, v18
	v_cmp_eq_u32_e64 s[4:5], 3, v18
	v_addc_co_u32_e32 v11, vcc, 0, v11, vcc
	v_lshrrev_b32_e32 v13, 2, v13
	s_or_b64 vcc, s[4:5], s[2:3]
	v_addc_co_u32_e32 v13, vcc, 0, v13, vcc
	v_cmp_gt_i32_e32 vcc, 31, v12
	v_cndmask_b32_e32 v11, v2, v11, vcc
	v_cmp_gt_i32_e32 vcc, 31, v14
	v_lshl_or_b32 v7, v7, 9, v2
	v_cndmask_b32_e32 v13, v2, v13, vcc
	v_cmp_eq_u32_e32 vcc, s17, v12
	v_lshrrev_b32_e32 v8, 16, v8
	v_lshl_or_b32 v9, v9, 9, v2
	v_cndmask_b32_e32 v7, v11, v7, vcc
	v_cmp_eq_u32_e32 vcc, s17, v14
	v_lshrrev_b32_e32 v10, 16, v10
	v_cndmask_b32_e32 v9, v13, v9, vcc
	v_and_or_b32 v7, v8, s18, v7
	v_and_or_b32 v8, v10, s18, v9
	v_and_b32_e32 v7, 0xffff, v7
	v_lshl_or_b32 v7, v8, 16, v7
	global_store_dword v[0:1], v7, off
	global_load_dword v9, v[16:17], off offset:1788
	ds_read2_b32 v[7:8], v71 offset0:63 offset1:162
	v_add_co_u32_e32 v0, vcc, s10, v0
	v_addc_co_u32_e32 v1, vcc, v1, v6, vcc
	s_waitcnt lgkmcnt(0)
	v_lshrrev_b32_e32 v10, 16, v7
	s_waitcnt vmcnt(0)
	v_mul_f16_sdwa v11, v10, v9 dst_sel:DWORD dst_unused:UNUSED_PAD src0_sel:DWORD src1_sel:WORD_1
	v_fma_f16 v11, v7, v9, v11
	v_mul_f16_sdwa v7, v7, v9 dst_sel:DWORD dst_unused:UNUSED_PAD src0_sel:DWORD src1_sel:WORD_1
	v_cvt_f32_f16_e32 v11, v11
	v_fma_f16 v7, v9, v10, -v7
	v_cvt_f32_f16_e32 v7, v7
	v_cvt_f64_f32_e32 v[9:10], v11
	v_cvt_f64_f32_e32 v[11:12], v7
	v_mul_f64 v[9:10], v[9:10], s[12:13]
	v_mul_f64 v[11:12], v[11:12], s[12:13]
	v_and_or_b32 v7, v10, s19, v9
	v_cmp_ne_u32_e32 vcc, 0, v7
	v_and_or_b32 v11, v12, s19, v11
	v_lshrrev_b32_e32 v9, 8, v10
	v_bfe_u32 v13, v10, 20, 11
	v_cndmask_b32_e64 v7, 0, 1, vcc
	v_cmp_ne_u32_e32 vcc, 0, v11
	v_lshrrev_b32_e32 v14, 8, v12
	v_bfe_u32 v15, v12, 20, 11
	v_sub_u32_e32 v18, 0x3f1, v13
	v_cndmask_b32_e64 v11, 0, 1, vcc
	v_and_or_b32 v7, v9, s16, v7
	v_sub_u32_e32 v19, 0x3f1, v15
	v_med3_i32 v9, v18, 0, 13
	v_and_or_b32 v11, v14, s16, v11
	v_or_b32_e32 v18, 0x1000, v7
	v_add_u32_e32 v13, 0xfffffc10, v13
	v_med3_i32 v14, v19, 0, 13
	v_cmp_ne_u32_e32 vcc, 0, v7
	v_or_b32_e32 v20, 0x1000, v11
	v_lshrrev_b32_e32 v22, v9, v18
	v_add_u32_e32 v15, 0xfffffc10, v15
	v_lshl_or_b32 v19, v13, 12, v7
	v_cndmask_b32_e64 v7, 0, 1, vcc
	v_cmp_ne_u32_e32 vcc, 0, v11
	v_lshrrev_b32_e32 v23, v14, v20
	v_lshlrev_b32_e32 v9, v9, v22
	v_lshl_or_b32 v21, v15, 12, v11
	v_cndmask_b32_e64 v11, 0, 1, vcc
	v_lshlrev_b32_e32 v14, v14, v23
	v_cmp_ne_u32_e32 vcc, v9, v18
	v_cndmask_b32_e64 v9, 0, 1, vcc
	v_cmp_ne_u32_e32 vcc, v14, v20
	v_cndmask_b32_e64 v14, 0, 1, vcc
	v_or_b32_e32 v9, v22, v9
	v_cmp_gt_i32_e32 vcc, 1, v13
	v_cndmask_b32_e32 v9, v19, v9, vcc
	v_or_b32_e32 v14, v23, v14
	v_cmp_gt_i32_e32 vcc, 1, v15
	v_and_b32_e32 v18, 7, v9
	v_cndmask_b32_e32 v14, v21, v14, vcc
	v_cmp_lt_i32_e32 vcc, 5, v18
	v_cmp_eq_u32_e64 s[0:1], 3, v18
	v_lshrrev_b32_e32 v9, 2, v9
	v_and_b32_e32 v19, 7, v14
	s_or_b64 vcc, s[0:1], vcc
	v_cmp_lt_i32_e64 s[2:3], 5, v19
	v_cmp_eq_u32_e64 s[4:5], 3, v19
	v_addc_co_u32_e32 v9, vcc, 0, v9, vcc
	v_lshrrev_b32_e32 v14, 2, v14
	s_or_b64 vcc, s[4:5], s[2:3]
	v_addc_co_u32_e32 v14, vcc, 0, v14, vcc
	v_cmp_gt_i32_e32 vcc, 31, v13
	v_cndmask_b32_e32 v9, v2, v9, vcc
	v_cmp_gt_i32_e32 vcc, 31, v15
	v_lshl_or_b32 v7, v7, 9, v2
	v_cndmask_b32_e32 v14, v2, v14, vcc
	v_cmp_eq_u32_e32 vcc, s17, v13
	v_lshrrev_b32_e32 v10, 16, v10
	v_lshl_or_b32 v11, v11, 9, v2
	v_cndmask_b32_e32 v7, v9, v7, vcc
	v_cmp_eq_u32_e32 vcc, s17, v15
	v_lshrrev_b32_e32 v12, 16, v12
	v_cndmask_b32_e32 v9, v14, v11, vcc
	v_and_or_b32 v7, v10, s18, v7
	v_and_or_b32 v9, v12, s18, v9
	v_and_b32_e32 v7, 0xffff, v7
	v_lshl_or_b32 v7, v9, 16, v7
	global_store_dword v[0:1], v7, off
	global_load_dword v7, v[16:17], off offset:2184
	v_lshrrev_b32_e32 v9, 16, v8
	v_add_co_u32_e32 v0, vcc, s10, v0
	v_addc_co_u32_e32 v1, vcc, v1, v6, vcc
	s_waitcnt vmcnt(0)
	v_mul_f16_sdwa v10, v9, v7 dst_sel:DWORD dst_unused:UNUSED_PAD src0_sel:DWORD src1_sel:WORD_1
	v_fma_f16 v10, v8, v7, v10
	v_mul_f16_sdwa v8, v8, v7 dst_sel:DWORD dst_unused:UNUSED_PAD src0_sel:DWORD src1_sel:WORD_1
	v_cvt_f32_f16_e32 v10, v10
	v_fma_f16 v7, v7, v9, -v8
	v_cvt_f32_f16_e32 v9, v7
	v_cvt_f64_f32_e32 v[7:8], v10
	v_cvt_f64_f32_e32 v[9:10], v9
	v_mul_f64 v[7:8], v[7:8], s[12:13]
	v_mul_f64 v[9:10], v[9:10], s[12:13]
	v_and_or_b32 v7, v8, s19, v7
	v_cmp_ne_u32_e32 vcc, 0, v7
	v_and_or_b32 v9, v10, s19, v9
	v_lshrrev_b32_e32 v11, 8, v8
	v_bfe_u32 v12, v8, 20, 11
	v_cndmask_b32_e64 v7, 0, 1, vcc
	v_cmp_ne_u32_e32 vcc, 0, v9
	v_lshrrev_b32_e32 v13, 8, v10
	v_bfe_u32 v14, v10, 20, 11
	v_sub_u32_e32 v15, 0x3f1, v12
	v_cndmask_b32_e64 v9, 0, 1, vcc
	v_and_or_b32 v7, v11, s16, v7
	v_sub_u32_e32 v18, 0x3f1, v14
	v_med3_i32 v11, v15, 0, 13
	v_and_or_b32 v9, v13, s16, v9
	v_or_b32_e32 v15, 0x1000, v7
	v_add_u32_e32 v12, 0xfffffc10, v12
	v_med3_i32 v13, v18, 0, 13
	v_cmp_ne_u32_e32 vcc, 0, v7
	v_or_b32_e32 v19, 0x1000, v9
	v_lshrrev_b32_e32 v21, v11, v15
	v_add_u32_e32 v14, 0xfffffc10, v14
	v_lshl_or_b32 v18, v12, 12, v7
	v_cndmask_b32_e64 v7, 0, 1, vcc
	v_cmp_ne_u32_e32 vcc, 0, v9
	v_lshrrev_b32_e32 v22, v13, v19
	v_lshlrev_b32_e32 v11, v11, v21
	v_lshl_or_b32 v20, v14, 12, v9
	v_cndmask_b32_e64 v9, 0, 1, vcc
	v_lshlrev_b32_e32 v13, v13, v22
	v_cmp_ne_u32_e32 vcc, v11, v15
	v_cndmask_b32_e64 v11, 0, 1, vcc
	v_cmp_ne_u32_e32 vcc, v13, v19
	v_cndmask_b32_e64 v13, 0, 1, vcc
	v_or_b32_e32 v11, v21, v11
	v_cmp_gt_i32_e32 vcc, 1, v12
	v_cndmask_b32_e32 v11, v18, v11, vcc
	v_or_b32_e32 v13, v22, v13
	v_cmp_gt_i32_e32 vcc, 1, v14
	v_and_b32_e32 v15, 7, v11
	v_cndmask_b32_e32 v13, v20, v13, vcc
	v_cmp_lt_i32_e32 vcc, 5, v15
	v_cmp_eq_u32_e64 s[0:1], 3, v15
	v_lshrrev_b32_e32 v11, 2, v11
	v_and_b32_e32 v18, 7, v13
	s_or_b64 vcc, s[0:1], vcc
	v_cmp_lt_i32_e64 s[2:3], 5, v18
	v_cmp_eq_u32_e64 s[4:5], 3, v18
	v_addc_co_u32_e32 v11, vcc, 0, v11, vcc
	v_lshrrev_b32_e32 v13, 2, v13
	s_or_b64 vcc, s[4:5], s[2:3]
	v_addc_co_u32_e32 v13, vcc, 0, v13, vcc
	v_cmp_gt_i32_e32 vcc, 31, v12
	v_cndmask_b32_e32 v11, v2, v11, vcc
	v_cmp_gt_i32_e32 vcc, 31, v14
	v_lshl_or_b32 v7, v7, 9, v2
	v_cndmask_b32_e32 v13, v2, v13, vcc
	v_cmp_eq_u32_e32 vcc, s17, v12
	v_lshrrev_b32_e32 v8, 16, v8
	v_lshl_or_b32 v9, v9, 9, v2
	v_cndmask_b32_e32 v7, v11, v7, vcc
	v_cmp_eq_u32_e32 vcc, s17, v14
	v_lshrrev_b32_e32 v10, 16, v10
	v_cndmask_b32_e32 v9, v13, v9, vcc
	v_and_or_b32 v7, v8, s18, v7
	v_and_or_b32 v8, v10, s18, v9
	v_and_b32_e32 v7, 0xffff, v7
	v_lshl_or_b32 v7, v8, 16, v7
	global_store_dword v[0:1], v7, off
	global_load_dword v9, v[16:17], off offset:2580
	ds_read2_b32 v[7:8], v70 offset0:133 offset1:232
	v_add_co_u32_e32 v0, vcc, s10, v0
	v_addc_co_u32_e32 v1, vcc, v1, v6, vcc
	s_waitcnt lgkmcnt(0)
	v_lshrrev_b32_e32 v10, 16, v7
	s_waitcnt vmcnt(0)
	v_mul_f16_sdwa v11, v10, v9 dst_sel:DWORD dst_unused:UNUSED_PAD src0_sel:DWORD src1_sel:WORD_1
	v_fma_f16 v11, v7, v9, v11
	v_mul_f16_sdwa v7, v7, v9 dst_sel:DWORD dst_unused:UNUSED_PAD src0_sel:DWORD src1_sel:WORD_1
	v_cvt_f32_f16_e32 v11, v11
	v_fma_f16 v7, v9, v10, -v7
	v_cvt_f32_f16_e32 v7, v7
	v_cvt_f64_f32_e32 v[9:10], v11
	v_cvt_f64_f32_e32 v[11:12], v7
	v_mul_f64 v[9:10], v[9:10], s[12:13]
	v_mul_f64 v[11:12], v[11:12], s[12:13]
	v_and_or_b32 v7, v10, s19, v9
	v_cmp_ne_u32_e32 vcc, 0, v7
	v_and_or_b32 v11, v12, s19, v11
	v_lshrrev_b32_e32 v9, 8, v10
	v_bfe_u32 v13, v10, 20, 11
	v_cndmask_b32_e64 v7, 0, 1, vcc
	v_cmp_ne_u32_e32 vcc, 0, v11
	v_lshrrev_b32_e32 v14, 8, v12
	v_bfe_u32 v15, v12, 20, 11
	v_sub_u32_e32 v18, 0x3f1, v13
	v_cndmask_b32_e64 v11, 0, 1, vcc
	v_and_or_b32 v7, v9, s16, v7
	v_sub_u32_e32 v19, 0x3f1, v15
	v_med3_i32 v9, v18, 0, 13
	v_and_or_b32 v11, v14, s16, v11
	v_or_b32_e32 v18, 0x1000, v7
	v_add_u32_e32 v13, 0xfffffc10, v13
	v_med3_i32 v14, v19, 0, 13
	v_cmp_ne_u32_e32 vcc, 0, v7
	v_or_b32_e32 v20, 0x1000, v11
	v_lshrrev_b32_e32 v22, v9, v18
	v_add_u32_e32 v15, 0xfffffc10, v15
	v_lshl_or_b32 v19, v13, 12, v7
	v_cndmask_b32_e64 v7, 0, 1, vcc
	v_cmp_ne_u32_e32 vcc, 0, v11
	v_lshrrev_b32_e32 v23, v14, v20
	v_lshlrev_b32_e32 v9, v9, v22
	v_lshl_or_b32 v21, v15, 12, v11
	v_cndmask_b32_e64 v11, 0, 1, vcc
	v_lshlrev_b32_e32 v14, v14, v23
	v_cmp_ne_u32_e32 vcc, v9, v18
	v_cndmask_b32_e64 v9, 0, 1, vcc
	v_cmp_ne_u32_e32 vcc, v14, v20
	v_cndmask_b32_e64 v14, 0, 1, vcc
	v_or_b32_e32 v9, v22, v9
	v_cmp_gt_i32_e32 vcc, 1, v13
	v_cndmask_b32_e32 v9, v19, v9, vcc
	v_or_b32_e32 v14, v23, v14
	v_cmp_gt_i32_e32 vcc, 1, v15
	v_and_b32_e32 v18, 7, v9
	v_cndmask_b32_e32 v14, v21, v14, vcc
	v_cmp_lt_i32_e32 vcc, 5, v18
	v_cmp_eq_u32_e64 s[0:1], 3, v18
	v_lshrrev_b32_e32 v9, 2, v9
	v_and_b32_e32 v19, 7, v14
	s_or_b64 vcc, s[0:1], vcc
	v_cmp_lt_i32_e64 s[2:3], 5, v19
	v_cmp_eq_u32_e64 s[4:5], 3, v19
	v_addc_co_u32_e32 v9, vcc, 0, v9, vcc
	v_lshrrev_b32_e32 v14, 2, v14
	s_or_b64 vcc, s[4:5], s[2:3]
	v_addc_co_u32_e32 v14, vcc, 0, v14, vcc
	v_cmp_gt_i32_e32 vcc, 31, v13
	v_cndmask_b32_e32 v9, v2, v9, vcc
	v_cmp_gt_i32_e32 vcc, 31, v15
	v_lshl_or_b32 v7, v7, 9, v2
	v_cndmask_b32_e32 v14, v2, v14, vcc
	v_cmp_eq_u32_e32 vcc, s17, v13
	v_lshrrev_b32_e32 v10, 16, v10
	v_lshl_or_b32 v11, v11, 9, v2
	v_cndmask_b32_e32 v7, v9, v7, vcc
	v_cmp_eq_u32_e32 vcc, s17, v15
	v_lshrrev_b32_e32 v12, 16, v12
	v_cndmask_b32_e32 v9, v14, v11, vcc
	v_and_or_b32 v7, v10, s18, v7
	v_and_or_b32 v9, v12, s18, v9
	v_and_b32_e32 v7, 0xffff, v7
	v_lshl_or_b32 v7, v9, 16, v7
	global_store_dword v[0:1], v7, off
	global_load_dword v7, v[16:17], off offset:2976
	v_lshrrev_b32_e32 v9, 16, v8
	v_add_co_u32_e32 v0, vcc, s10, v0
	v_addc_co_u32_e32 v1, vcc, v1, v6, vcc
	s_waitcnt vmcnt(0)
	v_mul_f16_sdwa v10, v9, v7 dst_sel:DWORD dst_unused:UNUSED_PAD src0_sel:DWORD src1_sel:WORD_1
	v_fma_f16 v10, v8, v7, v10
	v_mul_f16_sdwa v8, v8, v7 dst_sel:DWORD dst_unused:UNUSED_PAD src0_sel:DWORD src1_sel:WORD_1
	v_cvt_f32_f16_e32 v10, v10
	v_fma_f16 v7, v7, v9, -v8
	v_cvt_f32_f16_e32 v9, v7
	v_cvt_f64_f32_e32 v[7:8], v10
	v_cvt_f64_f32_e32 v[9:10], v9
	v_mul_f64 v[7:8], v[7:8], s[12:13]
	v_mul_f64 v[9:10], v[9:10], s[12:13]
	v_and_or_b32 v7, v8, s19, v7
	v_cmp_ne_u32_e32 vcc, 0, v7
	v_and_or_b32 v9, v10, s19, v9
	v_lshrrev_b32_e32 v11, 8, v8
	v_bfe_u32 v12, v8, 20, 11
	v_cndmask_b32_e64 v7, 0, 1, vcc
	v_cmp_ne_u32_e32 vcc, 0, v9
	v_lshrrev_b32_e32 v13, 8, v10
	v_bfe_u32 v14, v10, 20, 11
	v_sub_u32_e32 v15, 0x3f1, v12
	v_cndmask_b32_e64 v9, 0, 1, vcc
	v_and_or_b32 v7, v11, s16, v7
	v_sub_u32_e32 v18, 0x3f1, v14
	v_med3_i32 v11, v15, 0, 13
	v_and_or_b32 v9, v13, s16, v9
	v_or_b32_e32 v15, 0x1000, v7
	v_add_u32_e32 v12, 0xfffffc10, v12
	v_med3_i32 v13, v18, 0, 13
	v_cmp_ne_u32_e32 vcc, 0, v7
	v_or_b32_e32 v19, 0x1000, v9
	v_lshrrev_b32_e32 v21, v11, v15
	v_add_u32_e32 v14, 0xfffffc10, v14
	v_lshl_or_b32 v18, v12, 12, v7
	v_cndmask_b32_e64 v7, 0, 1, vcc
	v_cmp_ne_u32_e32 vcc, 0, v9
	v_lshrrev_b32_e32 v22, v13, v19
	v_lshlrev_b32_e32 v11, v11, v21
	v_lshl_or_b32 v20, v14, 12, v9
	v_cndmask_b32_e64 v9, 0, 1, vcc
	v_lshlrev_b32_e32 v13, v13, v22
	v_cmp_ne_u32_e32 vcc, v11, v15
	v_cndmask_b32_e64 v11, 0, 1, vcc
	v_cmp_ne_u32_e32 vcc, v13, v19
	v_cndmask_b32_e64 v13, 0, 1, vcc
	v_or_b32_e32 v11, v21, v11
	v_cmp_gt_i32_e32 vcc, 1, v12
	v_cndmask_b32_e32 v11, v18, v11, vcc
	v_or_b32_e32 v13, v22, v13
	v_cmp_gt_i32_e32 vcc, 1, v14
	v_and_b32_e32 v15, 7, v11
	v_cndmask_b32_e32 v13, v20, v13, vcc
	v_cmp_lt_i32_e32 vcc, 5, v15
	v_cmp_eq_u32_e64 s[0:1], 3, v15
	v_lshrrev_b32_e32 v11, 2, v11
	v_and_b32_e32 v18, 7, v13
	s_or_b64 vcc, s[0:1], vcc
	v_cmp_lt_i32_e64 s[2:3], 5, v18
	v_cmp_eq_u32_e64 s[4:5], 3, v18
	v_addc_co_u32_e32 v11, vcc, 0, v11, vcc
	v_lshrrev_b32_e32 v13, 2, v13
	s_or_b64 vcc, s[4:5], s[2:3]
	v_addc_co_u32_e32 v13, vcc, 0, v13, vcc
	v_cmp_gt_i32_e32 vcc, 31, v12
	v_cndmask_b32_e32 v11, v2, v11, vcc
	v_cmp_gt_i32_e32 vcc, 31, v14
	v_lshl_or_b32 v7, v7, 9, v2
	v_cndmask_b32_e32 v13, v2, v13, vcc
	v_cmp_eq_u32_e32 vcc, s17, v12
	v_lshrrev_b32_e32 v8, 16, v8
	v_lshl_or_b32 v9, v9, 9, v2
	v_cndmask_b32_e32 v7, v11, v7, vcc
	v_cmp_eq_u32_e32 vcc, s17, v14
	v_lshrrev_b32_e32 v10, 16, v10
	v_cndmask_b32_e32 v9, v13, v9, vcc
	v_and_or_b32 v7, v8, s18, v7
	v_and_or_b32 v8, v10, s18, v9
	v_and_b32_e32 v7, 0xffff, v7
	v_lshl_or_b32 v7, v8, 16, v7
	global_store_dword v[0:1], v7, off
	global_load_dword v9, v[16:17], off offset:3372
	ds_read2_b32 v[7:8], v69 offset0:75 offset1:174
	v_add_co_u32_e32 v13, vcc, s10, v0
	v_addc_co_u32_e32 v14, vcc, v1, v6, vcc
	s_waitcnt lgkmcnt(0)
	v_lshrrev_b32_e32 v10, 16, v7
	s_waitcnt vmcnt(0)
	v_mul_f16_sdwa v11, v10, v9 dst_sel:DWORD dst_unused:UNUSED_PAD src0_sel:DWORD src1_sel:WORD_1
	v_fma_f16 v11, v7, v9, v11
	v_mul_f16_sdwa v7, v7, v9 dst_sel:DWORD dst_unused:UNUSED_PAD src0_sel:DWORD src1_sel:WORD_1
	v_cvt_f32_f16_e32 v11, v11
	v_fma_f16 v7, v9, v10, -v7
	v_cvt_f32_f16_e32 v7, v7
	v_cvt_f64_f32_e32 v[9:10], v11
	v_cvt_f64_f32_e32 v[11:12], v7
	v_mul_f64 v[9:10], v[9:10], s[12:13]
	v_mul_f64 v[11:12], v[11:12], s[12:13]
	v_and_or_b32 v0, v10, s19, v9
	v_lshrrev_b32_e32 v1, 8, v10
	v_bfe_u32 v7, v10, 20, 11
	v_lshrrev_b32_e32 v9, 16, v10
	v_and_or_b32 v10, v12, s19, v11
	v_cmp_ne_u32_e32 vcc, 0, v0
	v_cndmask_b32_e64 v0, 0, 1, vcc
	v_cmp_ne_u32_e32 vcc, 0, v10
	v_lshrrev_b32_e32 v11, 8, v12
	v_bfe_u32 v15, v12, 20, 11
	v_sub_u32_e32 v18, 0x3f1, v7
	v_cndmask_b32_e64 v10, 0, 1, vcc
	v_and_or_b32 v0, v1, s16, v0
	v_sub_u32_e32 v19, 0x3f1, v15
	v_med3_i32 v1, v18, 0, 13
	v_and_or_b32 v10, v11, s16, v10
	v_or_b32_e32 v18, 0x1000, v0
	v_add_u32_e32 v7, 0xfffffc10, v7
	v_med3_i32 v11, v19, 0, 13
	v_cmp_ne_u32_e32 vcc, 0, v0
	v_or_b32_e32 v20, 0x1000, v10
	v_lshrrev_b32_e32 v22, v1, v18
	v_add_u32_e32 v15, 0xfffffc10, v15
	v_lshl_or_b32 v19, v7, 12, v0
	v_cndmask_b32_e64 v0, 0, 1, vcc
	v_cmp_ne_u32_e32 vcc, 0, v10
	v_lshrrev_b32_e32 v23, v11, v20
	v_lshlrev_b32_e32 v1, v1, v22
	v_lshl_or_b32 v21, v15, 12, v10
	v_cndmask_b32_e64 v10, 0, 1, vcc
	v_lshlrev_b32_e32 v11, v11, v23
	v_cmp_ne_u32_e32 vcc, v1, v18
	v_cndmask_b32_e64 v1, 0, 1, vcc
	v_cmp_ne_u32_e32 vcc, v11, v20
	v_cndmask_b32_e64 v11, 0, 1, vcc
	v_or_b32_e32 v1, v22, v1
	v_cmp_gt_i32_e32 vcc, 1, v7
	v_cndmask_b32_e32 v1, v19, v1, vcc
	v_or_b32_e32 v11, v23, v11
	v_cmp_gt_i32_e32 vcc, 1, v15
	v_and_b32_e32 v18, 7, v1
	v_cndmask_b32_e32 v11, v21, v11, vcc
	v_cmp_lt_i32_e32 vcc, 5, v18
	v_cmp_eq_u32_e64 s[0:1], 3, v18
	v_lshrrev_b32_e32 v1, 2, v1
	v_and_b32_e32 v19, 7, v11
	s_or_b64 vcc, s[0:1], vcc
	v_cmp_lt_i32_e64 s[2:3], 5, v19
	v_cmp_eq_u32_e64 s[4:5], 3, v19
	v_addc_co_u32_e32 v1, vcc, 0, v1, vcc
	v_lshrrev_b32_e32 v11, 2, v11
	s_or_b64 vcc, s[4:5], s[2:3]
	v_addc_co_u32_e32 v11, vcc, 0, v11, vcc
	v_cmp_gt_i32_e32 vcc, 31, v7
	v_cndmask_b32_e32 v1, v2, v1, vcc
	v_cmp_gt_i32_e32 vcc, 31, v15
	v_lshl_or_b32 v0, v0, 9, v2
	v_cndmask_b32_e32 v11, v2, v11, vcc
	v_cmp_eq_u32_e32 vcc, s17, v7
	v_lshl_or_b32 v10, v10, 9, v2
	v_cndmask_b32_e32 v0, v1, v0, vcc
	v_cmp_eq_u32_e32 vcc, s17, v15
	v_lshrrev_b32_e32 v12, 16, v12
	v_cndmask_b32_e32 v1, v11, v10, vcc
	v_and_or_b32 v0, v9, s18, v0
	v_and_or_b32 v1, v12, s18, v1
	v_and_b32_e32 v0, 0xffff, v0
	v_lshl_or_b32 v0, v1, 16, v0
	global_store_dword v[13:14], v0, off
	global_load_dword v0, v[16:17], off offset:3768
	v_lshrrev_b32_e32 v1, 16, v8
	s_waitcnt vmcnt(0)
	v_mul_f16_sdwa v7, v1, v0 dst_sel:DWORD dst_unused:UNUSED_PAD src0_sel:DWORD src1_sel:WORD_1
	v_fma_f16 v7, v8, v0, v7
	v_mul_f16_sdwa v8, v8, v0 dst_sel:DWORD dst_unused:UNUSED_PAD src0_sel:DWORD src1_sel:WORD_1
	v_cvt_f32_f16_e32 v7, v7
	v_fma_f16 v0, v0, v1, -v8
	v_cvt_f32_f16_e32 v8, v0
	v_cvt_f64_f32_e32 v[0:1], v7
	v_cvt_f64_f32_e32 v[7:8], v8
	v_mul_f64 v[9:10], v[0:1], s[12:13]
	v_add_co_u32_e32 v0, vcc, s20, v16
	v_mul_f64 v[7:8], v[7:8], s[12:13]
	v_addc_co_u32_e32 v1, vcc, 0, v17, vcc
	v_add_co_u32_e32 v11, vcc, s10, v13
	v_addc_co_u32_e32 v12, vcc, v14, v6, vcc
	v_and_or_b32 v9, v10, s19, v9
	v_and_or_b32 v7, v8, s19, v7
	v_cmp_ne_u32_e32 vcc, 0, v9
	v_lshrrev_b32_e32 v13, 8, v10
	v_bfe_u32 v14, v10, 20, 11
	v_cndmask_b32_e64 v9, 0, 1, vcc
	v_cmp_ne_u32_e32 vcc, 0, v7
	v_lshrrev_b32_e32 v15, 8, v8
	v_bfe_u32 v16, v8, 20, 11
	v_sub_u32_e32 v17, 0x3f1, v14
	v_cndmask_b32_e64 v7, 0, 1, vcc
	v_and_or_b32 v9, v13, s16, v9
	v_sub_u32_e32 v18, 0x3f1, v16
	v_med3_i32 v13, v17, 0, 13
	v_and_or_b32 v7, v15, s16, v7
	v_or_b32_e32 v17, 0x1000, v9
	v_add_u32_e32 v14, 0xfffffc10, v14
	v_med3_i32 v15, v18, 0, 13
	v_cmp_ne_u32_e32 vcc, 0, v9
	v_or_b32_e32 v19, 0x1000, v7
	v_lshrrev_b32_e32 v21, v13, v17
	v_add_u32_e32 v16, 0xfffffc10, v16
	v_lshl_or_b32 v18, v14, 12, v9
	v_cndmask_b32_e64 v9, 0, 1, vcc
	v_cmp_ne_u32_e32 vcc, 0, v7
	v_lshrrev_b32_e32 v22, v15, v19
	v_lshlrev_b32_e32 v13, v13, v21
	v_lshl_or_b32 v20, v16, 12, v7
	v_cndmask_b32_e64 v7, 0, 1, vcc
	v_lshlrev_b32_e32 v15, v15, v22
	v_cmp_ne_u32_e32 vcc, v13, v17
	v_cndmask_b32_e64 v13, 0, 1, vcc
	v_cmp_ne_u32_e32 vcc, v15, v19
	v_cndmask_b32_e64 v15, 0, 1, vcc
	v_or_b32_e32 v13, v21, v13
	v_cmp_gt_i32_e32 vcc, 1, v14
	v_cndmask_b32_e32 v13, v18, v13, vcc
	v_or_b32_e32 v15, v22, v15
	v_cmp_gt_i32_e32 vcc, 1, v16
	v_and_b32_e32 v17, 7, v13
	v_cndmask_b32_e32 v15, v20, v15, vcc
	v_cmp_lt_i32_e32 vcc, 5, v17
	v_cmp_eq_u32_e64 s[0:1], 3, v17
	v_lshrrev_b32_e32 v13, 2, v13
	v_and_b32_e32 v18, 7, v15
	s_or_b64 vcc, s[0:1], vcc
	v_cmp_lt_i32_e64 s[2:3], 5, v18
	v_cmp_eq_u32_e64 s[4:5], 3, v18
	v_addc_co_u32_e32 v13, vcc, 0, v13, vcc
	v_lshrrev_b32_e32 v15, 2, v15
	s_or_b64 vcc, s[4:5], s[2:3]
	v_addc_co_u32_e32 v15, vcc, 0, v15, vcc
	v_cmp_gt_i32_e32 vcc, 31, v14
	v_cndmask_b32_e32 v13, v2, v13, vcc
	v_cmp_gt_i32_e32 vcc, 31, v16
	v_lshl_or_b32 v9, v9, 9, v2
	v_cndmask_b32_e32 v15, v2, v15, vcc
	v_cmp_eq_u32_e32 vcc, s17, v14
	v_lshrrev_b32_e32 v10, 16, v10
	v_lshl_or_b32 v7, v7, 9, v2
	v_cndmask_b32_e32 v9, v13, v9, vcc
	v_cmp_eq_u32_e32 vcc, s17, v16
	v_lshrrev_b32_e32 v8, 16, v8
	v_cndmask_b32_e32 v7, v15, v7, vcc
	v_and_or_b32 v9, v10, s18, v9
	v_and_or_b32 v7, v8, s18, v7
	v_and_b32_e32 v8, 0xffff, v9
	v_lshl_or_b32 v7, v7, 16, v8
	global_store_dword v[11:12], v7, off
	global_load_dword v9, v[0:1], off offset:68
	ds_read2_b32 v[7:8], v68 offset0:17 offset1:116
	v_add_co_u32_e32 v11, vcc, s10, v11
	v_addc_co_u32_e32 v12, vcc, v12, v6, vcc
	s_waitcnt lgkmcnt(0)
	v_lshrrev_b32_e32 v10, 16, v7
	s_waitcnt vmcnt(0)
	v_mul_f16_sdwa v13, v10, v9 dst_sel:DWORD dst_unused:UNUSED_PAD src0_sel:DWORD src1_sel:WORD_1
	v_fma_f16 v13, v7, v9, v13
	v_mul_f16_sdwa v7, v7, v9 dst_sel:DWORD dst_unused:UNUSED_PAD src0_sel:DWORD src1_sel:WORD_1
	v_cvt_f32_f16_e32 v13, v13
	v_fma_f16 v7, v9, v10, -v7
	v_cvt_f32_f16_e32 v7, v7
	v_cvt_f64_f32_e32 v[9:10], v13
	v_cvt_f64_f32_e32 v[13:14], v7
	v_mul_f64 v[9:10], v[9:10], s[12:13]
	v_mul_f64 v[13:14], v[13:14], s[12:13]
	v_and_or_b32 v7, v10, s19, v9
	v_cmp_ne_u32_e32 vcc, 0, v7
	v_and_or_b32 v13, v14, s19, v13
	v_lshrrev_b32_e32 v9, 8, v10
	v_bfe_u32 v15, v10, 20, 11
	v_cndmask_b32_e64 v7, 0, 1, vcc
	v_cmp_ne_u32_e32 vcc, 0, v13
	v_lshrrev_b32_e32 v16, 8, v14
	v_bfe_u32 v17, v14, 20, 11
	v_sub_u32_e32 v18, 0x3f1, v15
	v_cndmask_b32_e64 v13, 0, 1, vcc
	v_and_or_b32 v7, v9, s16, v7
	v_sub_u32_e32 v19, 0x3f1, v17
	v_med3_i32 v9, v18, 0, 13
	v_and_or_b32 v13, v16, s16, v13
	v_or_b32_e32 v18, 0x1000, v7
	v_add_u32_e32 v15, 0xfffffc10, v15
	v_med3_i32 v16, v19, 0, 13
	v_cmp_ne_u32_e32 vcc, 0, v7
	v_or_b32_e32 v20, 0x1000, v13
	v_lshrrev_b32_e32 v22, v9, v18
	v_add_u32_e32 v17, 0xfffffc10, v17
	v_lshl_or_b32 v19, v15, 12, v7
	v_cndmask_b32_e64 v7, 0, 1, vcc
	v_cmp_ne_u32_e32 vcc, 0, v13
	v_lshrrev_b32_e32 v23, v16, v20
	v_lshlrev_b32_e32 v9, v9, v22
	v_lshl_or_b32 v21, v17, 12, v13
	v_cndmask_b32_e64 v13, 0, 1, vcc
	v_lshlrev_b32_e32 v16, v16, v23
	v_cmp_ne_u32_e32 vcc, v9, v18
	v_cndmask_b32_e64 v9, 0, 1, vcc
	v_cmp_ne_u32_e32 vcc, v16, v20
	v_cndmask_b32_e64 v16, 0, 1, vcc
	v_or_b32_e32 v9, v22, v9
	v_cmp_gt_i32_e32 vcc, 1, v15
	v_cndmask_b32_e32 v9, v19, v9, vcc
	v_or_b32_e32 v16, v23, v16
	v_cmp_gt_i32_e32 vcc, 1, v17
	v_and_b32_e32 v18, 7, v9
	v_cndmask_b32_e32 v16, v21, v16, vcc
	v_cmp_lt_i32_e32 vcc, 5, v18
	v_cmp_eq_u32_e64 s[0:1], 3, v18
	v_lshrrev_b32_e32 v9, 2, v9
	v_and_b32_e32 v19, 7, v16
	s_or_b64 vcc, s[0:1], vcc
	v_cmp_lt_i32_e64 s[2:3], 5, v19
	v_cmp_eq_u32_e64 s[4:5], 3, v19
	v_addc_co_u32_e32 v9, vcc, 0, v9, vcc
	v_lshrrev_b32_e32 v16, 2, v16
	s_or_b64 vcc, s[4:5], s[2:3]
	v_addc_co_u32_e32 v16, vcc, 0, v16, vcc
	v_cmp_gt_i32_e32 vcc, 31, v15
	v_cndmask_b32_e32 v9, v2, v9, vcc
	v_cmp_gt_i32_e32 vcc, 31, v17
	v_lshl_or_b32 v7, v7, 9, v2
	v_cndmask_b32_e32 v16, v2, v16, vcc
	v_cmp_eq_u32_e32 vcc, s17, v15
	v_lshrrev_b32_e32 v10, 16, v10
	v_lshl_or_b32 v13, v13, 9, v2
	v_cndmask_b32_e32 v7, v9, v7, vcc
	v_cmp_eq_u32_e32 vcc, s17, v17
	v_lshrrev_b32_e32 v14, 16, v14
	v_cndmask_b32_e32 v9, v16, v13, vcc
	v_and_or_b32 v7, v10, s18, v7
	v_and_or_b32 v9, v14, s18, v9
	v_and_b32_e32 v7, 0xffff, v7
	v_lshl_or_b32 v7, v9, 16, v7
	global_store_dword v[11:12], v7, off
	global_load_dword v7, v[0:1], off offset:464
	v_lshrrev_b32_e32 v9, 16, v8
	v_add_co_u32_e32 v11, vcc, s10, v11
	v_addc_co_u32_e32 v12, vcc, v12, v6, vcc
	s_waitcnt vmcnt(0)
	v_mul_f16_sdwa v10, v9, v7 dst_sel:DWORD dst_unused:UNUSED_PAD src0_sel:DWORD src1_sel:WORD_1
	v_fma_f16 v10, v8, v7, v10
	v_mul_f16_sdwa v8, v8, v7 dst_sel:DWORD dst_unused:UNUSED_PAD src0_sel:DWORD src1_sel:WORD_1
	v_cvt_f32_f16_e32 v10, v10
	v_fma_f16 v7, v7, v9, -v8
	v_cvt_f32_f16_e32 v9, v7
	v_cvt_f64_f32_e32 v[7:8], v10
	v_cvt_f64_f32_e32 v[9:10], v9
	v_mul_f64 v[7:8], v[7:8], s[12:13]
	v_mul_f64 v[9:10], v[9:10], s[12:13]
	v_and_or_b32 v7, v8, s19, v7
	v_cmp_ne_u32_e32 vcc, 0, v7
	v_and_or_b32 v9, v10, s19, v9
	v_lshrrev_b32_e32 v13, 8, v8
	v_bfe_u32 v14, v8, 20, 11
	v_cndmask_b32_e64 v7, 0, 1, vcc
	v_cmp_ne_u32_e32 vcc, 0, v9
	v_lshrrev_b32_e32 v15, 8, v10
	v_bfe_u32 v16, v10, 20, 11
	v_sub_u32_e32 v17, 0x3f1, v14
	v_cndmask_b32_e64 v9, 0, 1, vcc
	v_and_or_b32 v7, v13, s16, v7
	v_sub_u32_e32 v18, 0x3f1, v16
	v_med3_i32 v13, v17, 0, 13
	v_and_or_b32 v9, v15, s16, v9
	v_or_b32_e32 v17, 0x1000, v7
	v_add_u32_e32 v14, 0xfffffc10, v14
	v_med3_i32 v15, v18, 0, 13
	v_cmp_ne_u32_e32 vcc, 0, v7
	v_or_b32_e32 v19, 0x1000, v9
	v_lshrrev_b32_e32 v21, v13, v17
	v_add_u32_e32 v16, 0xfffffc10, v16
	v_lshl_or_b32 v18, v14, 12, v7
	v_cndmask_b32_e64 v7, 0, 1, vcc
	v_cmp_ne_u32_e32 vcc, 0, v9
	v_lshrrev_b32_e32 v22, v15, v19
	v_lshlrev_b32_e32 v13, v13, v21
	v_lshl_or_b32 v20, v16, 12, v9
	v_cndmask_b32_e64 v9, 0, 1, vcc
	v_lshlrev_b32_e32 v15, v15, v22
	v_cmp_ne_u32_e32 vcc, v13, v17
	v_cndmask_b32_e64 v13, 0, 1, vcc
	v_cmp_ne_u32_e32 vcc, v15, v19
	v_cndmask_b32_e64 v15, 0, 1, vcc
	v_or_b32_e32 v13, v21, v13
	v_cmp_gt_i32_e32 vcc, 1, v14
	v_cndmask_b32_e32 v13, v18, v13, vcc
	v_or_b32_e32 v15, v22, v15
	v_cmp_gt_i32_e32 vcc, 1, v16
	v_and_b32_e32 v17, 7, v13
	v_cndmask_b32_e32 v15, v20, v15, vcc
	v_cmp_lt_i32_e32 vcc, 5, v17
	v_cmp_eq_u32_e64 s[0:1], 3, v17
	v_lshrrev_b32_e32 v13, 2, v13
	v_and_b32_e32 v18, 7, v15
	s_or_b64 vcc, s[0:1], vcc
	v_cmp_lt_i32_e64 s[2:3], 5, v18
	v_cmp_eq_u32_e64 s[4:5], 3, v18
	v_addc_co_u32_e32 v13, vcc, 0, v13, vcc
	v_lshrrev_b32_e32 v15, 2, v15
	s_or_b64 vcc, s[4:5], s[2:3]
	v_addc_co_u32_e32 v15, vcc, 0, v15, vcc
	v_cmp_gt_i32_e32 vcc, 31, v14
	v_cndmask_b32_e32 v13, v2, v13, vcc
	v_cmp_gt_i32_e32 vcc, 31, v16
	v_lshl_or_b32 v7, v7, 9, v2
	v_cndmask_b32_e32 v15, v2, v15, vcc
	v_cmp_eq_u32_e32 vcc, s17, v14
	v_lshrrev_b32_e32 v8, 16, v8
	v_lshl_or_b32 v9, v9, 9, v2
	v_cndmask_b32_e32 v7, v13, v7, vcc
	v_cmp_eq_u32_e32 vcc, s17, v16
	v_lshrrev_b32_e32 v10, 16, v10
	v_cndmask_b32_e32 v9, v15, v9, vcc
	v_and_or_b32 v7, v8, s18, v7
	v_and_or_b32 v8, v10, s18, v9
	v_and_b32_e32 v7, 0xffff, v7
	v_lshl_or_b32 v7, v8, 16, v7
	global_store_dword v[11:12], v7, off
	global_load_dword v9, v[0:1], off offset:860
	ds_read2_b32 v[7:8], v5 offset0:87 offset1:186
	v_add_co_u32_e32 v11, vcc, s10, v11
	v_addc_co_u32_e32 v12, vcc, v12, v6, vcc
	s_waitcnt lgkmcnt(0)
	v_lshrrev_b32_e32 v5, 16, v7
	s_waitcnt vmcnt(0)
	v_mul_f16_sdwa v10, v5, v9 dst_sel:DWORD dst_unused:UNUSED_PAD src0_sel:DWORD src1_sel:WORD_1
	v_fma_f16 v10, v7, v9, v10
	v_mul_f16_sdwa v7, v7, v9 dst_sel:DWORD dst_unused:UNUSED_PAD src0_sel:DWORD src1_sel:WORD_1
	v_cvt_f32_f16_e32 v10, v10
	v_fma_f16 v5, v9, v5, -v7
	v_cvt_f32_f16_e32 v5, v5
	v_cvt_f64_f32_e32 v[9:10], v10
	v_cvt_f64_f32_e32 v[13:14], v5
	v_mul_f64 v[9:10], v[9:10], s[12:13]
	v_mul_f64 v[13:14], v[13:14], s[12:13]
	v_and_or_b32 v5, v10, s19, v9
	v_cmp_ne_u32_e32 vcc, 0, v5
	v_and_or_b32 v13, v14, s19, v13
	v_lshrrev_b32_e32 v7, 8, v10
	v_bfe_u32 v9, v10, 20, 11
	v_cndmask_b32_e64 v5, 0, 1, vcc
	v_cmp_ne_u32_e32 vcc, 0, v13
	v_lshrrev_b32_e32 v15, 8, v14
	v_bfe_u32 v16, v14, 20, 11
	v_sub_u32_e32 v17, 0x3f1, v9
	v_cndmask_b32_e64 v13, 0, 1, vcc
	v_and_or_b32 v5, v7, s16, v5
	v_sub_u32_e32 v18, 0x3f1, v16
	v_med3_i32 v7, v17, 0, 13
	v_and_or_b32 v13, v15, s16, v13
	v_or_b32_e32 v17, 0x1000, v5
	v_add_u32_e32 v9, 0xfffffc10, v9
	v_med3_i32 v15, v18, 0, 13
	v_cmp_ne_u32_e32 vcc, 0, v5
	v_or_b32_e32 v19, 0x1000, v13
	v_lshrrev_b32_e32 v21, v7, v17
	v_add_u32_e32 v16, 0xfffffc10, v16
	v_lshl_or_b32 v18, v9, 12, v5
	v_cndmask_b32_e64 v5, 0, 1, vcc
	v_cmp_ne_u32_e32 vcc, 0, v13
	v_lshrrev_b32_e32 v22, v15, v19
	v_lshlrev_b32_e32 v7, v7, v21
	v_lshl_or_b32 v20, v16, 12, v13
	v_cndmask_b32_e64 v13, 0, 1, vcc
	v_lshlrev_b32_e32 v15, v15, v22
	v_cmp_ne_u32_e32 vcc, v7, v17
	v_cndmask_b32_e64 v7, 0, 1, vcc
	v_cmp_ne_u32_e32 vcc, v15, v19
	v_cndmask_b32_e64 v15, 0, 1, vcc
	v_or_b32_e32 v7, v21, v7
	v_cmp_gt_i32_e32 vcc, 1, v9
	v_cndmask_b32_e32 v7, v18, v7, vcc
	v_or_b32_e32 v15, v22, v15
	v_cmp_gt_i32_e32 vcc, 1, v16
	v_and_b32_e32 v17, 7, v7
	v_cndmask_b32_e32 v15, v20, v15, vcc
	v_cmp_lt_i32_e32 vcc, 5, v17
	v_cmp_eq_u32_e64 s[0:1], 3, v17
	v_lshrrev_b32_e32 v7, 2, v7
	v_and_b32_e32 v18, 7, v15
	s_or_b64 vcc, s[0:1], vcc
	v_cmp_lt_i32_e64 s[2:3], 5, v18
	v_cmp_eq_u32_e64 s[4:5], 3, v18
	v_addc_co_u32_e32 v7, vcc, 0, v7, vcc
	v_lshrrev_b32_e32 v15, 2, v15
	s_or_b64 vcc, s[4:5], s[2:3]
	v_addc_co_u32_e32 v15, vcc, 0, v15, vcc
	v_cmp_gt_i32_e32 vcc, 31, v9
	v_cndmask_b32_e32 v7, v2, v7, vcc
	v_cmp_gt_i32_e32 vcc, 31, v16
	v_lshl_or_b32 v5, v5, 9, v2
	v_cndmask_b32_e32 v15, v2, v15, vcc
	v_cmp_eq_u32_e32 vcc, s17, v9
	v_lshrrev_b32_e32 v10, 16, v10
	v_lshl_or_b32 v13, v13, 9, v2
	v_cndmask_b32_e32 v5, v7, v5, vcc
	v_cmp_eq_u32_e32 vcc, s17, v16
	v_lshrrev_b32_e32 v14, 16, v14
	v_cndmask_b32_e32 v7, v15, v13, vcc
	v_and_or_b32 v5, v10, s18, v5
	v_and_or_b32 v7, v14, s18, v7
	v_and_b32_e32 v5, 0xffff, v5
	v_lshl_or_b32 v5, v7, 16, v5
	global_store_dword v[11:12], v5, off
	global_load_dword v5, v[0:1], off offset:1256
	v_lshrrev_b32_e32 v7, 16, v8
	v_add_co_u32_e32 v11, vcc, s10, v11
	v_addc_co_u32_e32 v12, vcc, v12, v6, vcc
	s_waitcnt vmcnt(0)
	v_mul_f16_sdwa v9, v7, v5 dst_sel:DWORD dst_unused:UNUSED_PAD src0_sel:DWORD src1_sel:WORD_1
	v_fma_f16 v9, v8, v5, v9
	v_mul_f16_sdwa v8, v8, v5 dst_sel:DWORD dst_unused:UNUSED_PAD src0_sel:DWORD src1_sel:WORD_1
	v_cvt_f32_f16_e32 v9, v9
	v_fma_f16 v5, v5, v7, -v8
	v_cvt_f32_f16_e32 v5, v5
	v_cvt_f64_f32_e32 v[7:8], v9
	v_cvt_f64_f32_e32 v[9:10], v5
	v_mul_f64 v[7:8], v[7:8], s[12:13]
	v_mul_f64 v[9:10], v[9:10], s[12:13]
	v_and_or_b32 v5, v8, s19, v7
	v_cmp_ne_u32_e32 vcc, 0, v5
	v_and_or_b32 v9, v10, s19, v9
	v_lshrrev_b32_e32 v7, 8, v8
	v_bfe_u32 v13, v8, 20, 11
	v_cndmask_b32_e64 v5, 0, 1, vcc
	v_cmp_ne_u32_e32 vcc, 0, v9
	v_lshrrev_b32_e32 v14, 8, v10
	v_bfe_u32 v15, v10, 20, 11
	v_sub_u32_e32 v16, 0x3f1, v13
	v_cndmask_b32_e64 v9, 0, 1, vcc
	v_and_or_b32 v5, v7, s16, v5
	v_sub_u32_e32 v17, 0x3f1, v15
	v_med3_i32 v7, v16, 0, 13
	v_and_or_b32 v9, v14, s16, v9
	v_or_b32_e32 v16, 0x1000, v5
	v_add_u32_e32 v13, 0xfffffc10, v13
	v_med3_i32 v14, v17, 0, 13
	v_cmp_ne_u32_e32 vcc, 0, v5
	v_or_b32_e32 v18, 0x1000, v9
	v_lshrrev_b32_e32 v20, v7, v16
	v_add_u32_e32 v15, 0xfffffc10, v15
	v_lshl_or_b32 v17, v13, 12, v5
	v_cndmask_b32_e64 v5, 0, 1, vcc
	v_cmp_ne_u32_e32 vcc, 0, v9
	v_lshrrev_b32_e32 v21, v14, v18
	v_lshlrev_b32_e32 v7, v7, v20
	v_lshl_or_b32 v19, v15, 12, v9
	v_cndmask_b32_e64 v9, 0, 1, vcc
	v_lshlrev_b32_e32 v14, v14, v21
	v_cmp_ne_u32_e32 vcc, v7, v16
	v_cndmask_b32_e64 v7, 0, 1, vcc
	v_cmp_ne_u32_e32 vcc, v14, v18
	v_cndmask_b32_e64 v14, 0, 1, vcc
	v_or_b32_e32 v7, v20, v7
	v_cmp_gt_i32_e32 vcc, 1, v13
	v_cndmask_b32_e32 v7, v17, v7, vcc
	v_or_b32_e32 v14, v21, v14
	v_cmp_gt_i32_e32 vcc, 1, v15
	v_and_b32_e32 v16, 7, v7
	v_cndmask_b32_e32 v14, v19, v14, vcc
	v_cmp_lt_i32_e32 vcc, 5, v16
	v_cmp_eq_u32_e64 s[0:1], 3, v16
	v_lshrrev_b32_e32 v7, 2, v7
	v_and_b32_e32 v17, 7, v14
	s_or_b64 vcc, s[0:1], vcc
	v_cmp_lt_i32_e64 s[2:3], 5, v17
	v_cmp_eq_u32_e64 s[4:5], 3, v17
	v_addc_co_u32_e32 v7, vcc, 0, v7, vcc
	v_lshrrev_b32_e32 v14, 2, v14
	s_or_b64 vcc, s[4:5], s[2:3]
	v_addc_co_u32_e32 v14, vcc, 0, v14, vcc
	v_cmp_gt_i32_e32 vcc, 31, v13
	v_cndmask_b32_e32 v7, v2, v7, vcc
	v_cmp_gt_i32_e32 vcc, 31, v15
	v_lshl_or_b32 v5, v5, 9, v2
	v_cndmask_b32_e32 v14, v2, v14, vcc
	v_cmp_eq_u32_e32 vcc, s17, v13
	v_lshrrev_b32_e32 v8, 16, v8
	v_lshl_or_b32 v9, v9, 9, v2
	v_cndmask_b32_e32 v5, v7, v5, vcc
	v_cmp_eq_u32_e32 vcc, s17, v15
	v_lshrrev_b32_e32 v10, 16, v10
	v_cndmask_b32_e32 v7, v14, v9, vcc
	v_and_or_b32 v5, v8, s18, v5
	v_and_or_b32 v7, v10, s18, v7
	v_and_b32_e32 v5, 0xffff, v5
	v_lshl_or_b32 v5, v7, 16, v5
	global_store_dword v[11:12], v5, off
	global_load_dword v5, v[0:1], off offset:1652
	ds_read2_b32 v[7:8], v67 offset0:29 offset1:128
	v_or_b32_e32 v15, 0x600, v100
	s_waitcnt lgkmcnt(0)
	v_lshrrev_b32_e32 v9, 16, v7
	s_waitcnt vmcnt(0)
	v_mul_f16_sdwa v10, v9, v5 dst_sel:DWORD dst_unused:UNUSED_PAD src0_sel:DWORD src1_sel:WORD_1
	v_fma_f16 v10, v7, v5, v10
	v_mul_f16_sdwa v7, v7, v5 dst_sel:DWORD dst_unused:UNUSED_PAD src0_sel:DWORD src1_sel:WORD_1
	v_cvt_f32_f16_e32 v10, v10
	v_fma_f16 v5, v5, v9, -v7
	v_cvt_f32_f16_e32 v5, v5
	v_lshlrev_b32_e32 v7, 2, v15
	v_cvt_f64_f32_e32 v[9:10], v10
	v_cvt_f64_f32_e32 v[13:14], v5
	v_add_co_u32_e32 v5, vcc, s10, v11
	v_mul_f64 v[9:10], v[9:10], s[12:13]
	v_mul_f64 v[13:14], v[13:14], s[12:13]
	v_addc_co_u32_e32 v6, vcc, v12, v6, vcc
	v_and_or_b32 v9, v10, s19, v9
	v_and_or_b32 v13, v14, s19, v13
	v_cmp_ne_u32_e32 vcc, 0, v9
	v_lshrrev_b32_e32 v11, 8, v10
	v_bfe_u32 v12, v10, 20, 11
	v_cndmask_b32_e64 v9, 0, 1, vcc
	v_cmp_ne_u32_e32 vcc, 0, v13
	v_lshrrev_b32_e32 v16, 8, v14
	v_bfe_u32 v17, v14, 20, 11
	v_sub_u32_e32 v18, 0x3f1, v12
	v_cndmask_b32_e64 v13, 0, 1, vcc
	v_and_or_b32 v9, v11, s16, v9
	v_sub_u32_e32 v19, 0x3f1, v17
	v_med3_i32 v11, v18, 0, 13
	v_and_or_b32 v13, v16, s16, v13
	v_or_b32_e32 v18, 0x1000, v9
	v_add_u32_e32 v12, 0xfffffc10, v12
	v_med3_i32 v16, v19, 0, 13
	v_cmp_ne_u32_e32 vcc, 0, v9
	v_or_b32_e32 v20, 0x1000, v13
	v_lshrrev_b32_e32 v22, v11, v18
	v_add_u32_e32 v17, 0xfffffc10, v17
	v_lshl_or_b32 v19, v12, 12, v9
	v_cndmask_b32_e64 v9, 0, 1, vcc
	v_cmp_ne_u32_e32 vcc, 0, v13
	v_lshrrev_b32_e32 v23, v16, v20
	v_lshlrev_b32_e32 v11, v11, v22
	v_lshl_or_b32 v21, v17, 12, v13
	v_cndmask_b32_e64 v13, 0, 1, vcc
	v_lshlrev_b32_e32 v16, v16, v23
	v_cmp_ne_u32_e32 vcc, v11, v18
	v_cndmask_b32_e64 v11, 0, 1, vcc
	v_cmp_ne_u32_e32 vcc, v16, v20
	v_cndmask_b32_e64 v16, 0, 1, vcc
	v_or_b32_e32 v11, v22, v11
	v_cmp_gt_i32_e32 vcc, 1, v12
	v_cndmask_b32_e32 v11, v19, v11, vcc
	v_or_b32_e32 v16, v23, v16
	v_cmp_gt_i32_e32 vcc, 1, v17
	v_and_b32_e32 v18, 7, v11
	v_cndmask_b32_e32 v16, v21, v16, vcc
	v_cmp_lt_i32_e32 vcc, 5, v18
	v_cmp_eq_u32_e64 s[0:1], 3, v18
	v_lshrrev_b32_e32 v11, 2, v11
	v_and_b32_e32 v19, 7, v16
	s_or_b64 vcc, s[0:1], vcc
	v_cmp_lt_i32_e64 s[2:3], 5, v19
	v_cmp_eq_u32_e64 s[4:5], 3, v19
	v_addc_co_u32_e32 v11, vcc, 0, v11, vcc
	v_lshrrev_b32_e32 v16, 2, v16
	s_or_b64 vcc, s[4:5], s[2:3]
	v_addc_co_u32_e32 v16, vcc, 0, v16, vcc
	v_cmp_gt_i32_e32 vcc, 31, v12
	v_cndmask_b32_e32 v11, v2, v11, vcc
	v_cmp_gt_i32_e32 vcc, 31, v17
	v_lshl_or_b32 v9, v9, 9, v2
	v_cndmask_b32_e32 v16, v2, v16, vcc
	v_cmp_eq_u32_e32 vcc, s17, v12
	v_lshrrev_b32_e32 v10, 16, v10
	v_lshl_or_b32 v13, v13, 9, v2
	v_cndmask_b32_e32 v9, v11, v9, vcc
	v_cmp_eq_u32_e32 vcc, s17, v17
	v_lshrrev_b32_e32 v14, 16, v14
	v_cndmask_b32_e32 v11, v16, v13, vcc
	v_and_or_b32 v9, v10, s18, v9
	v_and_or_b32 v10, v14, s18, v11
	v_and_b32_e32 v9, 0xffff, v9
	v_lshl_or_b32 v9, v10, 16, v9
	global_store_dword v[5:6], v9, off
	global_load_dword v11, v7, s[6:7]
	v_mad_u64_u32 v[9:10], s[0:1], s8, v15, 0
	v_lshrrev_b32_e32 v12, 16, v8
	s_mul_i32 s6, s9, 0x318
	v_mov_b32_e32 v7, v10
	s_waitcnt vmcnt(0)
	v_mul_f16_sdwa v10, v12, v11 dst_sel:DWORD dst_unused:UNUSED_PAD src0_sel:DWORD src1_sel:WORD_1
	v_fma_f16 v10, v8, v11, v10
	v_mul_f16_sdwa v8, v8, v11 dst_sel:DWORD dst_unused:UNUSED_PAD src0_sel:DWORD src1_sel:WORD_1
	v_cvt_f32_f16_e32 v10, v10
	v_fma_f16 v8, v11, v12, -v8
	v_cvt_f32_f16_e32 v12, v8
	v_mad_u64_u32 v[7:8], s[0:1], s9, v15, v[7:8]
	v_cvt_f64_f32_e32 v[10:11], v10
	v_cvt_f64_f32_e32 v[12:13], v12
	v_mul_f64 v[14:15], v[10:11], s[12:13]
	v_mov_b32_e32 v10, v7
	v_lshlrev_b64 v[7:8], 2, v[9:10]
	v_mul_f64 v[9:10], v[12:13], s[12:13]
	v_add_co_u32_e32 v3, vcc, v3, v7
	v_addc_co_u32_e32 v4, vcc, v4, v8, vcc
	v_and_or_b32 v7, v15, s19, v14
	v_cmp_ne_u32_e32 vcc, 0, v7
	v_lshrrev_b32_e32 v8, 8, v15
	v_and_or_b32 v9, v10, s19, v9
	v_bfe_u32 v11, v15, 20, 11
	v_cndmask_b32_e64 v7, 0, 1, vcc
	v_cmp_ne_u32_e32 vcc, 0, v9
	v_lshrrev_b32_e32 v12, 16, v15
	v_lshrrev_b32_e32 v13, 8, v10
	v_bfe_u32 v14, v10, 20, 11
	v_sub_u32_e32 v15, 0x3f1, v11
	v_cndmask_b32_e64 v9, 0, 1, vcc
	v_and_or_b32 v7, v8, s16, v7
	v_sub_u32_e32 v16, 0x3f1, v14
	v_med3_i32 v8, v15, 0, 13
	v_and_or_b32 v9, v13, s16, v9
	v_or_b32_e32 v15, 0x1000, v7
	v_add_u32_e32 v11, 0xfffffc10, v11
	v_med3_i32 v13, v16, 0, 13
	v_cmp_ne_u32_e32 vcc, 0, v7
	v_or_b32_e32 v17, 0x1000, v9
	v_lshrrev_b32_e32 v19, v8, v15
	v_add_u32_e32 v14, 0xfffffc10, v14
	v_lshl_or_b32 v16, v11, 12, v7
	v_cndmask_b32_e64 v7, 0, 1, vcc
	v_cmp_ne_u32_e32 vcc, 0, v9
	v_lshrrev_b32_e32 v20, v13, v17
	v_lshlrev_b32_e32 v8, v8, v19
	v_lshl_or_b32 v18, v14, 12, v9
	v_cndmask_b32_e64 v9, 0, 1, vcc
	v_lshlrev_b32_e32 v13, v13, v20
	v_cmp_ne_u32_e32 vcc, v8, v15
	v_cndmask_b32_e64 v8, 0, 1, vcc
	v_cmp_ne_u32_e32 vcc, v13, v17
	v_cndmask_b32_e64 v13, 0, 1, vcc
	v_or_b32_e32 v8, v19, v8
	v_cmp_gt_i32_e32 vcc, 1, v11
	v_cndmask_b32_e32 v8, v16, v8, vcc
	v_or_b32_e32 v13, v20, v13
	v_cmp_gt_i32_e32 vcc, 1, v14
	v_and_b32_e32 v15, 7, v8
	v_cndmask_b32_e32 v13, v18, v13, vcc
	v_cmp_lt_i32_e32 vcc, 5, v15
	v_cmp_eq_u32_e64 s[0:1], 3, v15
	v_lshrrev_b32_e32 v8, 2, v8
	v_and_b32_e32 v16, 7, v13
	s_or_b64 vcc, s[0:1], vcc
	v_cmp_lt_i32_e64 s[2:3], 5, v16
	v_cmp_eq_u32_e64 s[4:5], 3, v16
	v_addc_co_u32_e32 v8, vcc, 0, v8, vcc
	v_lshrrev_b32_e32 v13, 2, v13
	s_or_b64 vcc, s[4:5], s[2:3]
	v_addc_co_u32_e32 v13, vcc, 0, v13, vcc
	v_cmp_gt_i32_e32 vcc, 31, v11
	v_cndmask_b32_e32 v8, v2, v8, vcc
	v_cmp_gt_i32_e32 vcc, 31, v14
	v_lshl_or_b32 v7, v7, 9, v2
	v_cndmask_b32_e32 v13, v2, v13, vcc
	v_cmp_eq_u32_e32 vcc, s17, v11
	v_lshl_or_b32 v9, v9, 9, v2
	v_cndmask_b32_e32 v7, v8, v7, vcc
	v_cmp_eq_u32_e32 vcc, s17, v14
	v_lshrrev_b32_e32 v10, 16, v10
	v_cndmask_b32_e32 v8, v13, v9, vcc
	v_and_or_b32 v7, v12, s18, v7
	v_and_or_b32 v8, v10, s18, v8
	v_and_b32_e32 v7, 0xffff, v7
	v_lshl_or_b32 v7, v8, 16, v7
	global_store_dword v[3:4], v7, off
	global_load_dword v0, v[0:1], off offset:2444
	ds_read_b32 v1, v99 offset:6540
	v_mov_b32_e32 v7, 0x318
	v_mad_u64_u32 v[5:6], s[0:1], s8, v7, v[5:6]
	s_waitcnt lgkmcnt(0)
	v_lshrrev_b32_e32 v3, 16, v1
	v_add_u32_e32 v6, s6, v6
	s_waitcnt vmcnt(0)
	v_mul_f16_sdwa v4, v3, v0 dst_sel:DWORD dst_unused:UNUSED_PAD src0_sel:DWORD src1_sel:WORD_1
	v_fma_f16 v4, v1, v0, v4
	v_mul_f16_sdwa v1, v1, v0 dst_sel:DWORD dst_unused:UNUSED_PAD src0_sel:DWORD src1_sel:WORD_1
	v_cvt_f32_f16_e32 v4, v4
	v_fma_f16 v0, v0, v3, -v1
	v_cvt_f32_f16_e32 v3, v0
	v_cvt_f64_f32_e32 v[0:1], v4
	v_cvt_f64_f32_e32 v[3:4], v3
	v_mul_f64 v[0:1], v[0:1], s[12:13]
	v_mul_f64 v[3:4], v[3:4], s[12:13]
	v_and_or_b32 v0, v1, s19, v0
	v_cmp_ne_u32_e32 vcc, 0, v0
	v_and_or_b32 v3, v4, s19, v3
	v_lshrrev_b32_e32 v7, 8, v1
	v_bfe_u32 v8, v1, 20, 11
	v_cndmask_b32_e64 v0, 0, 1, vcc
	v_cmp_ne_u32_e32 vcc, 0, v3
	v_lshrrev_b32_e32 v9, 8, v4
	v_bfe_u32 v10, v4, 20, 11
	v_sub_u32_e32 v11, 0x3f1, v8
	v_cndmask_b32_e64 v3, 0, 1, vcc
	v_and_or_b32 v0, v7, s16, v0
	v_sub_u32_e32 v12, 0x3f1, v10
	v_med3_i32 v7, v11, 0, 13
	v_and_or_b32 v3, v9, s16, v3
	v_or_b32_e32 v11, 0x1000, v0
	v_add_u32_e32 v8, 0xfffffc10, v8
	v_med3_i32 v9, v12, 0, 13
	v_cmp_ne_u32_e32 vcc, 0, v0
	v_or_b32_e32 v13, 0x1000, v3
	v_lshrrev_b32_e32 v15, v7, v11
	v_add_u32_e32 v10, 0xfffffc10, v10
	v_lshl_or_b32 v12, v8, 12, v0
	v_cndmask_b32_e64 v0, 0, 1, vcc
	v_cmp_ne_u32_e32 vcc, 0, v3
	v_lshrrev_b32_e32 v16, v9, v13
	v_lshlrev_b32_e32 v7, v7, v15
	v_lshl_or_b32 v14, v10, 12, v3
	v_cndmask_b32_e64 v3, 0, 1, vcc
	v_lshlrev_b32_e32 v9, v9, v16
	v_cmp_ne_u32_e32 vcc, v7, v11
	v_cndmask_b32_e64 v7, 0, 1, vcc
	v_cmp_ne_u32_e32 vcc, v9, v13
	v_cndmask_b32_e64 v9, 0, 1, vcc
	v_or_b32_e32 v7, v15, v7
	v_cmp_gt_i32_e32 vcc, 1, v8
	v_cndmask_b32_e32 v7, v12, v7, vcc
	v_or_b32_e32 v9, v16, v9
	v_cmp_gt_i32_e32 vcc, 1, v10
	v_and_b32_e32 v11, 7, v7
	v_cndmask_b32_e32 v9, v14, v9, vcc
	v_cmp_lt_i32_e32 vcc, 5, v11
	v_cmp_eq_u32_e64 s[0:1], 3, v11
	v_lshrrev_b32_e32 v7, 2, v7
	v_and_b32_e32 v12, 7, v9
	s_or_b64 vcc, s[0:1], vcc
	v_cmp_lt_i32_e64 s[2:3], 5, v12
	v_cmp_eq_u32_e64 s[4:5], 3, v12
	v_addc_co_u32_e32 v7, vcc, 0, v7, vcc
	v_lshrrev_b32_e32 v9, 2, v9
	s_or_b64 vcc, s[4:5], s[2:3]
	v_addc_co_u32_e32 v9, vcc, 0, v9, vcc
	v_cmp_gt_i32_e32 vcc, 31, v8
	v_cndmask_b32_e32 v7, v2, v7, vcc
	v_cmp_gt_i32_e32 vcc, 31, v10
	v_lshl_or_b32 v0, v0, 9, v2
	v_lshl_or_b32 v3, v3, 9, v2
	v_cndmask_b32_e32 v2, v2, v9, vcc
	v_cmp_eq_u32_e32 vcc, s17, v8
	v_lshrrev_b32_e32 v1, 16, v1
	v_cndmask_b32_e32 v0, v7, v0, vcc
	v_cmp_eq_u32_e32 vcc, s17, v10
	v_lshrrev_b32_e32 v4, 16, v4
	v_cndmask_b32_e32 v2, v2, v3, vcc
	v_and_or_b32 v0, v1, s18, v0
	v_and_or_b32 v1, v4, s18, v2
	v_and_b32_e32 v0, 0xffff, v0
	v_lshl_or_b32 v0, v1, 16, v0
	global_store_dword v[5:6], v0, off
.LBB0_15:
	s_endpgm
	.section	.rodata,"a",@progbits
	.p2align	6, 0x0
	.amdhsa_kernel bluestein_single_back_len1683_dim1_half_op_CI_CI
		.amdhsa_group_segment_fixed_size 6732
		.amdhsa_private_segment_fixed_size 56
		.amdhsa_kernarg_size 104
		.amdhsa_user_sgpr_count 6
		.amdhsa_user_sgpr_private_segment_buffer 1
		.amdhsa_user_sgpr_dispatch_ptr 0
		.amdhsa_user_sgpr_queue_ptr 0
		.amdhsa_user_sgpr_kernarg_segment_ptr 1
		.amdhsa_user_sgpr_dispatch_id 0
		.amdhsa_user_sgpr_flat_scratch_init 0
		.amdhsa_user_sgpr_private_segment_size 0
		.amdhsa_uses_dynamic_stack 0
		.amdhsa_system_sgpr_private_segment_wavefront_offset 1
		.amdhsa_system_sgpr_workgroup_id_x 1
		.amdhsa_system_sgpr_workgroup_id_y 0
		.amdhsa_system_sgpr_workgroup_id_z 0
		.amdhsa_system_sgpr_workgroup_info 0
		.amdhsa_system_vgpr_workitem_id 0
		.amdhsa_next_free_vgpr 256
		.amdhsa_next_free_sgpr 48
		.amdhsa_reserve_vcc 1
		.amdhsa_reserve_flat_scratch 0
		.amdhsa_float_round_mode_32 0
		.amdhsa_float_round_mode_16_64 0
		.amdhsa_float_denorm_mode_32 3
		.amdhsa_float_denorm_mode_16_64 3
		.amdhsa_dx10_clamp 1
		.amdhsa_ieee_mode 1
		.amdhsa_fp16_overflow 0
		.amdhsa_exception_fp_ieee_invalid_op 0
		.amdhsa_exception_fp_denorm_src 0
		.amdhsa_exception_fp_ieee_div_zero 0
		.amdhsa_exception_fp_ieee_overflow 0
		.amdhsa_exception_fp_ieee_underflow 0
		.amdhsa_exception_fp_ieee_inexact 0
		.amdhsa_exception_int_div_zero 0
	.end_amdhsa_kernel
	.text
.Lfunc_end0:
	.size	bluestein_single_back_len1683_dim1_half_op_CI_CI, .Lfunc_end0-bluestein_single_back_len1683_dim1_half_op_CI_CI
                                        ; -- End function
	.section	.AMDGPU.csdata,"",@progbits
; Kernel info:
; codeLenInByte = 68676
; NumSgprs: 52
; NumVgprs: 256
; ScratchSize: 56
; MemoryBound: 0
; FloatMode: 240
; IeeeMode: 1
; LDSByteSize: 6732 bytes/workgroup (compile time only)
; SGPRBlocks: 6
; VGPRBlocks: 63
; NumSGPRsForWavesPerEU: 52
; NumVGPRsForWavesPerEU: 256
; Occupancy: 1
; WaveLimiterHint : 1
; COMPUTE_PGM_RSRC2:SCRATCH_EN: 1
; COMPUTE_PGM_RSRC2:USER_SGPR: 6
; COMPUTE_PGM_RSRC2:TRAP_HANDLER: 0
; COMPUTE_PGM_RSRC2:TGID_X_EN: 1
; COMPUTE_PGM_RSRC2:TGID_Y_EN: 0
; COMPUTE_PGM_RSRC2:TGID_Z_EN: 0
; COMPUTE_PGM_RSRC2:TIDIG_COMP_CNT: 0
	.type	__hip_cuid_1cb3ba0a3dcdfd32,@object ; @__hip_cuid_1cb3ba0a3dcdfd32
	.section	.bss,"aw",@nobits
	.globl	__hip_cuid_1cb3ba0a3dcdfd32
__hip_cuid_1cb3ba0a3dcdfd32:
	.byte	0                               ; 0x0
	.size	__hip_cuid_1cb3ba0a3dcdfd32, 1

	.ident	"AMD clang version 19.0.0git (https://github.com/RadeonOpenCompute/llvm-project roc-6.4.0 25133 c7fe45cf4b819c5991fe208aaa96edf142730f1d)"
	.section	".note.GNU-stack","",@progbits
	.addrsig
	.addrsig_sym __hip_cuid_1cb3ba0a3dcdfd32
	.amdgpu_metadata
---
amdhsa.kernels:
  - .args:
      - .actual_access:  read_only
        .address_space:  global
        .offset:         0
        .size:           8
        .value_kind:     global_buffer
      - .actual_access:  read_only
        .address_space:  global
        .offset:         8
        .size:           8
        .value_kind:     global_buffer
      - .actual_access:  read_only
        .address_space:  global
        .offset:         16
        .size:           8
        .value_kind:     global_buffer
      - .actual_access:  read_only
        .address_space:  global
        .offset:         24
        .size:           8
        .value_kind:     global_buffer
      - .actual_access:  read_only
        .address_space:  global
        .offset:         32
        .size:           8
        .value_kind:     global_buffer
      - .offset:         40
        .size:           8
        .value_kind:     by_value
      - .address_space:  global
        .offset:         48
        .size:           8
        .value_kind:     global_buffer
      - .address_space:  global
        .offset:         56
        .size:           8
        .value_kind:     global_buffer
      - .address_space:  global
        .offset:         64
        .size:           8
        .value_kind:     global_buffer
      - .address_space:  global
        .offset:         72
        .size:           8
        .value_kind:     global_buffer
      - .offset:         80
        .size:           4
        .value_kind:     by_value
      - .address_space:  global
        .offset:         88
        .size:           8
        .value_kind:     global_buffer
      - .address_space:  global
        .offset:         96
        .size:           8
        .value_kind:     global_buffer
    .group_segment_fixed_size: 6732
    .kernarg_segment_align: 8
    .kernarg_segment_size: 104
    .language:       OpenCL C
    .language_version:
      - 2
      - 0
    .max_flat_workgroup_size: 51
    .name:           bluestein_single_back_len1683_dim1_half_op_CI_CI
    .private_segment_fixed_size: 56
    .sgpr_count:     52
    .sgpr_spill_count: 0
    .symbol:         bluestein_single_back_len1683_dim1_half_op_CI_CI.kd
    .uniform_work_group_size: 1
    .uses_dynamic_stack: false
    .vgpr_count:     256
    .vgpr_spill_count: 13
    .wavefront_size: 64
amdhsa.target:   amdgcn-amd-amdhsa--gfx906
amdhsa.version:
  - 1
  - 2
...

	.end_amdgpu_metadata
